;; amdgpu-corpus repo=pytorch/pytorch kind=compiled arch=gfx942 opt=O3
	.text
	.amdgcn_target "amdgcn-amd-amdhsa--gfx942"
	.amdhsa_code_object_version 6
	.section	.text._ZN2at6native12_GLOBAL__N_143distribution_elementwise_grid_stride_kernelIdLi2EZNS0_9templates4cuda20normal_and_transformIddPNS_17CUDAGeneratorImplEZZZNS4_17log_normal_kernelIS7_EEvRNS_18TensorIteratorBaseEddT_ENKUlvE_clEvENKUlvE_clEvEUldE_EEvSA_T1_T2_EUlP25hiprandStatePhilox4_32_10E_ZNS1_27distribution_nullary_kernelIdd15HIP_vector_typeIdLj2EES7_SJ_SE_EEvSA_SG_RKT3_T4_EUlidE_EEvlNS_15PhiloxCudaStateESF_SG_,"axG",@progbits,_ZN2at6native12_GLOBAL__N_143distribution_elementwise_grid_stride_kernelIdLi2EZNS0_9templates4cuda20normal_and_transformIddPNS_17CUDAGeneratorImplEZZZNS4_17log_normal_kernelIS7_EEvRNS_18TensorIteratorBaseEddT_ENKUlvE_clEvENKUlvE_clEvEUldE_EEvSA_T1_T2_EUlP25hiprandStatePhilox4_32_10E_ZNS1_27distribution_nullary_kernelIdd15HIP_vector_typeIdLj2EES7_SJ_SE_EEvSA_SG_RKT3_T4_EUlidE_EEvlNS_15PhiloxCudaStateESF_SG_,comdat
	.globl	_ZN2at6native12_GLOBAL__N_143distribution_elementwise_grid_stride_kernelIdLi2EZNS0_9templates4cuda20normal_and_transformIddPNS_17CUDAGeneratorImplEZZZNS4_17log_normal_kernelIS7_EEvRNS_18TensorIteratorBaseEddT_ENKUlvE_clEvENKUlvE_clEvEUldE_EEvSA_T1_T2_EUlP25hiprandStatePhilox4_32_10E_ZNS1_27distribution_nullary_kernelIdd15HIP_vector_typeIdLj2EES7_SJ_SE_EEvSA_SG_RKT3_T4_EUlidE_EEvlNS_15PhiloxCudaStateESF_SG_ ; -- Begin function _ZN2at6native12_GLOBAL__N_143distribution_elementwise_grid_stride_kernelIdLi2EZNS0_9templates4cuda20normal_and_transformIddPNS_17CUDAGeneratorImplEZZZNS4_17log_normal_kernelIS7_EEvRNS_18TensorIteratorBaseEddT_ENKUlvE_clEvENKUlvE_clEvEUldE_EEvSA_T1_T2_EUlP25hiprandStatePhilox4_32_10E_ZNS1_27distribution_nullary_kernelIdd15HIP_vector_typeIdLj2EES7_SJ_SE_EEvSA_SG_RKT3_T4_EUlidE_EEvlNS_15PhiloxCudaStateESF_SG_
	.p2align	8
	.type	_ZN2at6native12_GLOBAL__N_143distribution_elementwise_grid_stride_kernelIdLi2EZNS0_9templates4cuda20normal_and_transformIddPNS_17CUDAGeneratorImplEZZZNS4_17log_normal_kernelIS7_EEvRNS_18TensorIteratorBaseEddT_ENKUlvE_clEvENKUlvE_clEvEUldE_EEvSA_T1_T2_EUlP25hiprandStatePhilox4_32_10E_ZNS1_27distribution_nullary_kernelIdd15HIP_vector_typeIdLj2EES7_SJ_SE_EEvSA_SG_RKT3_T4_EUlidE_EEvlNS_15PhiloxCudaStateESF_SG_,@function
_ZN2at6native12_GLOBAL__N_143distribution_elementwise_grid_stride_kernelIdLi2EZNS0_9templates4cuda20normal_and_transformIddPNS_17CUDAGeneratorImplEZZZNS4_17log_normal_kernelIS7_EEvRNS_18TensorIteratorBaseEddT_ENKUlvE_clEvENKUlvE_clEvEUldE_EEvSA_T1_T2_EUlP25hiprandStatePhilox4_32_10E_ZNS1_27distribution_nullary_kernelIdd15HIP_vector_typeIdLj2EES7_SJ_SE_EEvSA_SG_RKT3_T4_EUlidE_EEvlNS_15PhiloxCudaStateESF_SG_: ; @_ZN2at6native12_GLOBAL__N_143distribution_elementwise_grid_stride_kernelIdLi2EZNS0_9templates4cuda20normal_and_transformIddPNS_17CUDAGeneratorImplEZZZNS4_17log_normal_kernelIS7_EEvRNS_18TensorIteratorBaseEddT_ENKUlvE_clEvENKUlvE_clEvEUldE_EEvSA_T1_T2_EUlP25hiprandStatePhilox4_32_10E_ZNS1_27distribution_nullary_kernelIdd15HIP_vector_typeIdLj2EES7_SJ_SE_EEvSA_SG_RKT3_T4_EUlidE_EEvlNS_15PhiloxCudaStateESF_SG_
; %bb.0:
	s_load_dword s3, s[0:1], 0x20
	s_load_dwordx2 s[4:5], s[0:1], 0x10
	s_load_dwordx4 s[8:11], s[0:1], 0x0
	s_mov_b32 s7, 0
	s_waitcnt lgkmcnt(0)
	s_bitcmp0_b32 s3, 0
	v_mov_b64_e32 v[2:3], s[4:5]
	v_mov_b64_e32 v[12:13], s[10:11]
	s_cbranch_scc1 .LBB0_2
; %bb.1:
	v_mov_b64_e32 v[4:5], s[4:5]
	v_mov_b64_e32 v[2:3], s[10:11]
	flat_load_dwordx2 v[6:7], v[4:5]
	flat_load_dwordx2 v[12:13], v[2:3]
	s_load_dwordx2 s[4:5], s[0:1], 0x18
	s_waitcnt vmcnt(0) lgkmcnt(0)
	v_lshl_add_u64 v[2:3], v[6:7], 0, s[4:5]
.LBB0_2:
	s_load_dword s3, s[0:1], 0x5c
	s_load_dword s20, s[0:1], 0x50
	s_mov_b32 s12, s7
	s_mov_b64 s[4:5], -1
	s_waitcnt lgkmcnt(0)
	s_and_b32 s3, s3, 0xffff
	s_add_u32 s11, s8, -1
	s_mul_i32 s10, s20, s3
	s_addc_u32 s13, s9, -1
	s_lshl_b32 s6, s10, 1
	s_cmp_lg_u64 s[12:13], 0
	s_cbranch_scc0 .LBB0_23
; %bb.3:
	v_cvt_f32_u32_e32 v1, s6
	v_cvt_f32_ubyte0_e32 v4, 0
	s_sub_u32 s12, 0, s6
	s_subb_u32 s14, 0, 0
	v_fmamk_f32 v1, v4, 0x4f800000, v1
	v_rcp_f32_e32 v1, v1
	s_nop 0
	v_mul_f32_e32 v1, 0x5f7ffffc, v1
	v_mul_f32_e32 v4, 0x2f800000, v1
	v_trunc_f32_e32 v4, v4
	v_fmamk_f32 v1, v4, 0xcf800000, v1
	v_cvt_u32_f32_e32 v4, v4
	v_cvt_u32_f32_e32 v1, v1
	v_readfirstlane_b32 s15, v4
	v_readfirstlane_b32 s16, v1
	s_mul_i32 s17, s12, s15
	s_mul_hi_u32 s19, s12, s16
	s_mul_i32 s18, s14, s16
	s_add_i32 s17, s19, s17
	s_add_i32 s17, s17, s18
	s_mul_i32 s21, s12, s16
	s_mul_hi_u32 s18, s16, s17
	s_mul_i32 s19, s16, s17
	s_mul_hi_u32 s16, s16, s21
	s_add_u32 s16, s16, s19
	s_addc_u32 s18, 0, s18
	s_mul_hi_u32 s22, s15, s21
	s_mul_i32 s21, s15, s21
	s_add_u32 s16, s16, s21
	s_mul_hi_u32 s19, s15, s17
	s_addc_u32 s16, s18, s22
	s_addc_u32 s18, s19, 0
	s_mul_i32 s17, s15, s17
	s_add_u32 s16, s16, s17
	s_addc_u32 s17, 0, s18
	v_add_co_u32_e32 v1, vcc, s16, v1
	s_cmp_lg_u64 vcc, 0
	s_addc_u32 s15, s15, s17
	v_readfirstlane_b32 s17, v1
	s_mul_i32 s16, s12, s15
	s_mul_hi_u32 s18, s12, s17
	s_add_i32 s16, s18, s16
	s_mul_i32 s14, s14, s17
	s_add_i32 s16, s16, s14
	s_mul_i32 s12, s12, s17
	s_mul_hi_u32 s18, s15, s12
	s_mul_i32 s19, s15, s12
	s_mul_i32 s22, s17, s16
	s_mul_hi_u32 s12, s17, s12
	s_mul_hi_u32 s21, s17, s16
	s_add_u32 s12, s12, s22
	s_addc_u32 s17, 0, s21
	s_add_u32 s12, s12, s19
	s_mul_hi_u32 s14, s15, s16
	s_addc_u32 s12, s17, s18
	s_addc_u32 s14, s14, 0
	s_mul_i32 s16, s15, s16
	s_add_u32 s12, s12, s16
	s_addc_u32 s14, 0, s14
	v_add_co_u32_e32 v1, vcc, s12, v1
	s_cmp_lg_u64 vcc, 0
	s_addc_u32 s16, s15, s14
	s_ashr_i32 s14, s13, 31
	s_add_u32 s12, s11, s14
	s_mov_b32 s15, s14
	s_addc_u32 s13, s13, s14
	s_xor_b64 s[12:13], s[12:13], s[14:15]
	v_readfirstlane_b32 s19, v1
	s_mul_i32 s18, s12, s16
	s_mul_hi_u32 s21, s12, s19
	s_mul_hi_u32 s17, s12, s16
	s_add_u32 s18, s21, s18
	s_addc_u32 s17, 0, s17
	s_mul_hi_u32 s22, s13, s19
	s_mul_i32 s19, s13, s19
	s_add_u32 s18, s18, s19
	s_mul_hi_u32 s21, s13, s16
	s_addc_u32 s17, s17, s22
	s_addc_u32 s18, s21, 0
	s_mul_i32 s16, s13, s16
	s_add_u32 s16, s17, s16
	s_addc_u32 s17, 0, s18
	s_add_u32 s18, s16, 1
	s_addc_u32 s19, s17, 0
	s_add_u32 s21, s16, 2
	s_mul_i32 s23, s6, s17
	s_mul_hi_u32 s24, s6, s16
	s_addc_u32 s22, s17, 0
	s_add_i32 s24, s24, s23
	s_mul_i32 s23, s6, s16
	v_mov_b32_e32 v1, s23
	v_sub_co_u32_e32 v1, vcc, s12, v1
	s_cmp_lg_u64 vcc, 0
	s_subb_u32 s12, s13, s24
	v_subrev_co_u32_e32 v4, vcc, s6, v1
	s_cmp_lg_u64 vcc, 0
	s_subb_u32 s13, s12, 0
	v_readfirstlane_b32 s23, v4
	s_cmp_ge_u32 s23, s6
	s_cselect_b32 s23, -1, 0
	s_cmp_eq_u32 s13, 0
	s_cselect_b32 s13, s23, -1
	s_cmp_lg_u32 s13, 0
	s_cselect_b32 s13, s22, s19
	v_readfirstlane_b32 s19, v1
	s_cselect_b32 s18, s21, s18
	s_cmp_ge_u32 s19, s6
	s_cselect_b32 s19, -1, 0
	s_cmp_eq_u32 s12, 0
	s_cselect_b32 s12, s19, -1
	s_cmp_lg_u32 s12, 0
	s_cselect_b32 s13, s13, s17
	s_cselect_b32 s12, s18, s16
	s_xor_b64 s[12:13], s[12:13], s[14:15]
	s_sub_u32 s12, s12, s14
	s_subb_u32 s13, s13, s14
	s_cbranch_execnz .LBB0_5
.LBB0_4:
	v_cvt_f32_u32_e32 v1, s6
	s_sub_i32 s4, 0, s6
	s_mov_b32 s13, 0
	v_rcp_iflag_f32_e32 v1, v1
	s_nop 0
	v_mul_f32_e32 v1, 0x4f7ffffe, v1
	v_cvt_u32_f32_e32 v1, v1
	s_nop 0
	v_readfirstlane_b32 s5, v1
	s_mul_i32 s4, s4, s5
	s_mul_hi_u32 s4, s5, s4
	s_add_i32 s5, s5, s4
	s_mul_hi_u32 s4, s11, s5
	s_mul_i32 s12, s4, s6
	s_sub_i32 s11, s11, s12
	s_add_i32 s5, s4, 1
	s_sub_i32 s12, s11, s6
	s_cmp_ge_u32 s11, s6
	s_cselect_b32 s4, s5, s4
	s_cselect_b32 s11, s12, s11
	s_add_i32 s5, s4, 1
	s_cmp_ge_u32 s11, s6
	s_cselect_b32 s12, s5, s4
.LBB0_5:
	v_mov_b32_e32 v1, 0
	v_mov_b32_e32 v4, s2
	v_mad_u64_u32 v[14:15], s[4:5], s3, v4, v[0:1]
	s_add_u32 s4, s12, 1
	s_addc_u32 s5, s13, 0
	s_mul_hi_u32 s11, s20, s3
	s_mul_i32 s5, s10, s5
	s_mul_hi_u32 s12, s10, s4
	s_add_i32 s5, s12, s5
	s_mul_i32 s11, s11, s4
	s_add_i32 s5, s5, s11
	s_mul_i32 s4, s10, s4
	s_lshl_b64 s[16:17], s[4:5], 1
	v_cmp_gt_i64_e32 vcc, s[16:17], v[14:15]
	s_and_saveexec_b64 s[4:5], vcc
	s_cbranch_execz .LBB0_22
; %bb.6:
	s_load_dwordx2 s[18:19], s[0:1], 0x30
	s_load_dword s4, s[0:1], 0x38
	s_load_dwordx4 s[12:15], s[0:1], 0x40
	v_mov_b32_e32 v4, v13
	v_mov_b32_e32 v5, v1
	s_mov_b64 s[0:1], 0xdb3d7428
	v_lshl_add_u64 v[16:17], v[4:5], 0, s[0:1]
	s_mov_b64 s[0:1], 0x5384540f
	v_lshl_add_u64 v[18:19], v[12:13], 0, s[0:1]
	;; [unrolled: 2-line block ×7, first 2 shown]
	s_mov_b64 s[0:1], 0x9e3779b9
	v_alignbit_b32 v17, v3, v2, 2
	s_mov_b32 s33, 0xd2511f53
	v_lshl_add_u64 v[30:31], v[12:13], 0, s[0:1]
	v_mad_u64_u32 v[6:7], s[0:1], v17, s33, 0
	v_and_b32_e32 v104, 3, v2
	v_xor_b32_e32 v2, v7, v13
	v_xor_b32_e32 v2, v2, v15
	s_mov_b32 s56, 0xcd9e8d57
	v_mad_u64_u32 v[8:9], s[0:1], v2, s56, 0
	v_xor_b32_e32 v2, v30, v9
	v_mad_u64_u32 v[10:11], s[0:1], v14, s56, 0
	v_xor_b32_e32 v2, v2, v10
	;; [unrolled: 2-line block ×3, first 2 shown]
	v_lshrrev_b32_e32 v19, 2, v3
	v_xor_b32_e32 v2, v2, v19
	v_xor_b32_e32 v7, v28, v39
	v_mad_u64_u32 v[2:3], s[0:1], v2, s33, 0
	v_xor_b32_e32 v2, v7, v2
	v_mad_u64_u32 v[10:11], s[0:1], v2, s56, 0
	s_mov_b64 s[0:1], 0xbb67ae85
	s_nop 0
	v_lshl_add_u64 v[32:33], v[4:5], 0, s[0:1]
	v_xor_b32_e32 v2, v32, v3
	v_xor_b32_e32 v2, v2, v6
	v_xor_b32_e32 v7, v26, v11
	v_mad_u64_u32 v[2:3], s[0:1], v2, s56, 0
	v_xor_b32_e32 v2, v7, v2
	v_mad_u64_u32 v[6:7], s[0:1], v2, s33, 0
	s_mov_b64 s[0:1], 0x3c6ef372
	s_nop 0
	v_lshl_add_u64 v[34:35], v[12:13], 0, s[0:1]
	v_xor_b32_e32 v2, v34, v3
	;; [unrolled: 9-line block ×7, first 2 shown]
	v_xor_b32_e32 v2, v2, v46
	v_mad_u64_u32 v[2:3], s[0:1], v2, s56, 0
	s_mov_b64 s[0:1], 0xf1bbcdc8
	v_add_u32_e32 v105, 0x8ff34781, v12
	v_xor_b32_e32 v2, v51, v2
	v_lshl_add_u64 v[46:47], v[12:13], 0, s[0:1]
	v_xor_b32_e32 v6, v105, v2
	v_xor_b32_e32 v2, v46, v3
	;; [unrolled: 1-line block ×3, first 2 shown]
	v_mad_u64_u32 v[2:3], s[0:1], v2, s33, 0
	s_mul_i32 s0, s2, s3
	v_mov_b32_e32 v9, v2
	v_add_u32_e32 v2, s0, v0
	s_waitcnt lgkmcnt(0)
	s_mul_i32 s0, s20, s4
	s_mul_i32 s0, s0, s3
	s_lshl_b32 s57, s0, 1
	s_add_i32 s0, s2, s20
	s_mul_i32 s0, s0, s3
	s_mov_b32 s11, 0
	v_add_u32_e32 v106, 0x96a522ad, v13
	v_xor_b32_e32 v3, v3, v48
	v_add_u32_e32 v0, s0, v0
	s_mov_b32 s22, 0x55555555
	s_mov_b32 s24, 0xbf559e2b
	;; [unrolled: 1-line block ×13, first 2 shown]
	v_xor_b32_e32 v8, v106, v3
	v_mov_b32_e32 v7, v50
	v_mul_lo_u32 v21, s4, v2
	v_mul_lo_u32 v23, s4, v0
	s_mov_b64 s[20:21], 0
	s_mov_b32 s23, 0x3fe55555
	s_mov_b32 s25, 0x3fc3ab76
	;; [unrolled: 1-line block ×5, first 2 shown]
	s_brev_b32 s35, 8
	s_mov_b32 s37, 0x3f3e357e
	s_mov_b32 s39, 0x400921fb
	;; [unrolled: 1-line block ×9, first 2 shown]
	v_mov_b32_e32 v48, 0x6b47b09a
	v_mov_b32_e32 v49, 0x3fc38538
	;; [unrolled: 1-line block ×52, first 2 shown]
	s_mov_b32 s58, s11
	v_mov_b32_e32 v25, 0x260
	v_mov_b32_e32 v27, 0x7ff00000
	;; [unrolled: 1-line block ×6, first 2 shown]
	s_branch .LBB0_8
.LBB0_7:                                ;   in Loop: Header=BB0_8 Depth=1
	s_or_b64 exec, exec, s[4:5]
	v_mov_b32_e32 v5, v100
	v_lshl_add_u64 v[14:15], v[14:15], 0, s[6:7]
	s_add_i32 s58, s58, s57
	v_cmp_le_i64_e32 vcc, s[16:17], v[14:15]
	v_mov_b64_e32 v[8:9], v[4:5]
	s_or_b64 s[20:21], vcc, s[20:21]
	v_mov_b64_e32 v[6:7], v[2:3]
	s_barrier
	s_andn2_b64 exec, exec, s[20:21]
	s_cbranch_execz .LBB0_22
.LBB0_8:                                ; =>This Inner Loop Header: Depth=1
	v_add_co_u32_e32 v17, vcc, 1, v17
	v_mad_u64_u32 v[2:3], s[0:1], v17, s33, 0
	s_nop 0
	v_cndmask_b32_e64 v0, 0, 1, vcc
	v_addc_co_u32_e32 v19, vcc, 0, v19, vcc
	v_cmp_eq_u32_e32 vcc, 0, v19
	v_xor_b32_e32 v3, v3, v13
	s_nop 0
	v_cndmask_b32_e32 v0, 0, v0, vcc
	v_add_u32_e32 v33, v0, v33
	v_cmp_eq_u32_e32 vcc, 0, v33
	v_mad_u64_u32 v[4:5], s[0:1], v33, s56, 0
	s_nop 0
	v_cndmask_b32_e32 v0, 0, v0, vcc
	v_add_u32_e32 v35, v0, v35
	v_xor_b32_e32 v0, v5, v12
	v_xor_b32_e32 v0, v19, v0
	v_xor_b32_e32 v3, v35, v3
	v_mad_u64_u32 v[10:11], s[0:1], v0, s33, 0
	v_mad_u64_u32 v[100:101], s[0:1], v3, s56, 0
	v_xor_b32_e32 v0, v30, v101
	v_xor_b32_e32 v3, v32, v11
	v_xor_b32_e32 v0, v0, v4
	v_xor_b32_e32 v4, v3, v2
	v_mad_u64_u32 v[2:3], s[0:1], v0, s33, 0
	v_mad_u64_u32 v[4:5], s[0:1], v4, s56, 0
	v_xor_b32_e32 v0, v34, v5
	;; [unrolled: 6-line block ×9, first 2 shown]
	v_xor_b32_e32 v2, v105, v0
	v_xor_b32_e32 v0, v101, v4
	;; [unrolled: 1-line block ×3, first 2 shown]
	v_mov_b32_e32 v3, v10
	v_mov_b32_e32 v4, v11
	v_cmp_lt_i32_e32 vcc, 1, v104
	s_and_saveexec_b64 s[0:1], vcc
	s_xor_b64 s[0:1], exec, s[0:1]
	s_cbranch_execz .LBB0_14
; %bb.9:                                ;   in Loop: Header=BB0_8 Depth=1
	v_cmp_lt_i32_e32 vcc, 2, v104
	s_and_saveexec_b64 s[2:3], vcc
	s_xor_b64 s[2:3], exec, s[2:3]
; %bb.10:                               ;   in Loop: Header=BB0_8 Depth=1
	v_mov_b32_e32 v8, v9
	v_mov_b32_e32 v9, v2
	v_mov_b64_e32 v[6:7], v[8:9]
	v_mov_b64_e32 v[8:9], v[10:11]
                                        ; implicit-def: $vgpr10_vgpr11
; %bb.11:                               ;   in Loop: Header=BB0_8 Depth=1
	s_andn2_saveexec_b64 s[2:3], s[2:3]
; %bb.12:                               ;   in Loop: Header=BB0_8 Depth=1
	v_mov_b32_e32 v6, v8
	v_mov_b32_e32 v7, v9
	;; [unrolled: 1-line block ×4, first 2 shown]
; %bb.13:                               ;   in Loop: Header=BB0_8 Depth=1
	s_or_b64 exec, exec, s[2:3]
.LBB0_14:                               ;   in Loop: Header=BB0_8 Depth=1
	s_andn2_saveexec_b64 s[0:1], s[0:1]
	s_cbranch_execz .LBB0_18
; %bb.15:                               ;   in Loop: Header=BB0_8 Depth=1
	v_cmp_eq_u32_e32 vcc, 1, v104
	s_and_saveexec_b64 s[2:3], vcc
; %bb.16:                               ;   in Loop: Header=BB0_8 Depth=1
	v_mov_b32_e32 v6, v7
	v_mov_b32_e32 v7, v8
	v_mov_b32_e32 v8, v9
	v_mov_b32_e32 v9, v2
; %bb.17:                               ;   in Loop: Header=BB0_8 Depth=1
	s_or_b64 exec, exec, s[2:3]
.LBB0_18:                               ;   in Loop: Header=BB0_8 Depth=1
	s_or_b64 exec, exec, s[0:1]
	v_mov_b32_e32 v0, v7
	v_lshlrev_b64 v[10:11], 21, v[0:1]
	v_xor_b32_e32 v0, v10, v6
	v_cvt_f64_u32_e32 v[6:7], v11
	v_ldexp_f64 v[6:7], v[6:7], 32
	v_cvt_f64_u32_e32 v[10:11], v0
	v_add_f64 v[6:7], v[6:7], v[10:11]
	v_mov_b32_e32 v10, 0
	v_mov_b32_e32 v11, 0x3ca00000
	v_fmac_f64_e32 v[10:11], 0x3ca00000, v[6:7]
	v_frexp_mant_f64_e32 v[102:103], v[10:11]
	v_cmp_gt_f64_e32 vcc, s[22:23], v[102:103]
	v_mov_b32_e32 v5, 0x3ff00000
	v_mov_b32_e32 v108, v1
	v_cndmask_b32_e64 v109, v5, 2.0, vcc
	v_mul_f64 v[102:103], v[102:103], v[108:109]
	v_add_f64 v[108:109], v[102:103], 1.0
	v_rcp_f64_e32 v[110:111], v[108:109]
	v_add_f64 v[114:115], v[108:109], -1.0
	v_add_f64 v[112:113], v[102:103], -1.0
	v_add_f64 v[102:103], v[102:103], -v[114:115]
	v_fma_f64 v[114:115], -v[108:109], v[110:111], 1.0
	v_fmac_f64_e32 v[110:111], v[114:115], v[110:111]
	v_fma_f64 v[114:115], -v[108:109], v[110:111], 1.0
	v_fmac_f64_e32 v[110:111], v[114:115], v[110:111]
	v_mul_f64 v[114:115], v[112:113], v[110:111]
	v_mul_f64 v[116:117], v[108:109], v[114:115]
	v_fma_f64 v[108:109], v[114:115], v[108:109], -v[116:117]
	v_fmac_f64_e32 v[108:109], v[114:115], v[102:103]
	v_add_f64 v[102:103], v[116:117], v[108:109]
	v_add_f64 v[118:119], v[112:113], -v[102:103]
	v_add_f64 v[116:117], v[102:103], -v[116:117]
	;; [unrolled: 1-line block ×5, first 2 shown]
	v_add_f64 v[102:103], v[108:109], v[102:103]
	v_add_f64 v[102:103], v[118:119], v[102:103]
	v_mul_f64 v[102:103], v[110:111], v[102:103]
	v_add_f64 v[108:109], v[114:115], v[102:103]
	v_add_f64 v[110:111], v[108:109], -v[114:115]
	v_add_f64 v[102:103], v[102:103], -v[110:111]
	v_mul_f64 v[110:111], v[108:109], v[108:109]
	v_mov_b64_e32 v[112:113], v[48:49]
	v_fmac_f64_e32 v[112:113], s[24:25], v[110:111]
	v_mov_b64_e32 v[114:115], v[50:51]
	v_fmac_f64_e32 v[114:115], v[110:111], v[112:113]
	;; [unrolled: 2-line block ×6, first 2 shown]
	v_ldexp_f64 v[112:113], v[108:109], 1
	v_mul_f64 v[108:109], v[108:109], v[110:111]
	v_mul_f64 v[108:109], v[108:109], v[114:115]
	v_add_f64 v[110:111], v[112:113], v[108:109]
	v_mov_b32_e32 v0, v9
	v_add_f64 v[112:113], v[110:111], -v[112:113]
	v_lshlrev_b64 v[6:7], 21, v[0:1]
	v_ldexp_f64 v[102:103], v[102:103], 1
	v_add_f64 v[108:109], v[108:109], -v[112:113]
	v_xor_b32_e32 v0, v6, v8
	v_add_f64 v[102:103], v[102:103], v[108:109]
	v_cvt_f64_u32_e32 v[8:9], v0
	v_frexp_exp_i32_f64_e32 v0, v[10:11]
	v_add_f64 v[108:109], v[110:111], v[102:103]
	v_subbrev_co_u32_e32 v0, vcc, 0, v0, vcc
	v_add_f64 v[110:111], v[108:109], -v[110:111]
	v_add_f64 v[102:103], v[102:103], -v[110:111]
	v_cvt_f64_i32_e32 v[110:111], v0
	v_mul_f64 v[112:113], v[110:111], s[26:27]
	v_fma_f64 v[114:115], v[110:111], s[26:27], -v[112:113]
	v_fmac_f64_e32 v[114:115], s[28:29], v[110:111]
	v_add_f64 v[110:111], v[112:113], v[114:115]
	v_add_f64 v[112:113], v[110:111], -v[112:113]
	v_add_f64 v[112:113], v[114:115], -v[112:113]
	v_add_f64 v[114:115], v[110:111], v[108:109]
	v_add_f64 v[116:117], v[114:115], -v[110:111]
	v_add_f64 v[118:119], v[114:115], -v[116:117]
	v_add_f64 v[110:111], v[110:111], -v[118:119]
	v_add_f64 v[108:109], v[108:109], -v[116:117]
	v_add_f64 v[108:109], v[108:109], v[110:111]
	v_add_f64 v[110:111], v[112:113], v[102:103]
	v_add_f64 v[116:117], v[110:111], -v[112:113]
	v_add_f64 v[118:119], v[110:111], -v[116:117]
	v_add_f64 v[108:109], v[110:111], v[108:109]
	v_add_f64 v[112:113], v[112:113], -v[118:119]
	v_add_f64 v[102:103], v[102:103], -v[116:117]
	v_add_f64 v[110:111], v[114:115], v[108:109]
	v_add_f64 v[102:103], v[102:103], v[112:113]
	v_add_f64 v[112:113], v[110:111], -v[114:115]
	v_add_f64 v[108:109], v[108:109], -v[112:113]
	v_add_f64 v[102:103], v[102:103], v[108:109]
	v_add_f64 v[102:103], v[110:111], v[102:103]
	v_cmp_eq_f64_e32 vcc, s[30:31], v[10:11]
	v_cvt_f64_u32_e32 v[6:7], v7
	v_ldexp_f64 v[6:7], v[6:7], 32
	v_cndmask_b32_e32 v103, v103, v11, vcc
	v_cndmask_b32_e32 v102, v102, v10, vcc
	v_mul_f64 v[102:103], v[102:103], -2.0
	v_cmp_neq_f64_e32 vcc, 0, v[10:11]
	v_add_f64 v[6:7], v[6:7], v[8:9]
	v_cmp_gt_i64_e64 s[2:3], s[8:9], v[14:15]
	v_cndmask_b32_e32 v11, v27, v103, vcc
	v_cndmask_b32_e32 v10, 0, v102, vcc
	v_cmp_gt_f64_e32 vcc, s[34:35], v[10:11]
	s_nop 1
	v_cndmask_b32_e64 v0, 0, 1, vcc
	v_lshlrev_b32_e32 v0, 8, v0
	v_ldexp_f64 v[102:103], v[10:11], v0
	v_rsq_f64_e32 v[108:109], v[102:103]
	v_mov_b32_e32 v10, 0
	v_mov_b32_e32 v11, 0x3cb00000
	v_fmac_f64_e32 v[10:11], 0x3cb00000, v[6:7]
	v_mul_f64 v[6:7], v[102:103], v[108:109]
	v_mul_f64 v[8:9], v[108:109], 0.5
	v_fma_f64 v[108:109], -v[8:9], v[6:7], 0.5
	v_fmac_f64_e32 v[6:7], v[6:7], v[108:109]
	v_fma_f64 v[110:111], -v[6:7], v[6:7], v[102:103]
	v_fmac_f64_e32 v[8:9], v[8:9], v[108:109]
	v_fmac_f64_e32 v[6:7], v[110:111], v[8:9]
	v_fma_f64 v[108:109], -v[6:7], v[6:7], v[102:103]
	v_fmac_f64_e32 v[6:7], v[108:109], v[8:9]
	v_cndmask_b32_e32 v0, 0, v29, vcc
	v_ldexp_f64 v[6:7], v[6:7], v0
	v_cmp_class_f64_e32 vcc, v[102:103], v25
	v_mul_f64 v[8:9], v[10:11], 0.5
	v_mov_b64_e32 v[110:111], v[62:63]
	v_cndmask_b32_e32 v7, v7, v103, vcc
	v_cndmask_b32_e32 v6, v6, v102, vcc
	v_fract_f64_e32 v[102:103], v[8:9]
	v_add_f64 v[102:103], v[102:103], v[102:103]
	v_cmp_neq_f64_e32 vcc, s[30:31], v[8:9]
	s_nop 1
	v_cndmask_b32_e32 v0, 0, v102, vcc
	v_cndmask_b32_e32 v5, 0, v103, vcc
	v_cmp_lt_f64_e32 vcc, 1.0, v[10:11]
	s_nop 1
	v_cndmask_b32_e32 v103, v11, v5, vcc
	v_cndmask_b32_e32 v102, v10, v0, vcc
	v_add_f64 v[8:9], v[102:103], v[102:103]
	v_rndne_f64_e32 v[8:9], v[8:9]
	v_fmac_f64_e32 v[102:103], -0.5, v[8:9]
	v_cvt_i32_f64_e32 v5, v[8:9]
	v_mul_f64 v[108:109], v[102:103], v[102:103]
	v_mov_b64_e32 v[8:9], v[60:61]
	v_fmac_f64_e32 v[8:9], s[36:37], v[108:109]
	v_fmac_f64_e32 v[110:111], v[108:109], v[8:9]
	v_mov_b64_e32 v[8:9], v[64:65]
	v_fmac_f64_e32 v[8:9], v[108:109], v[110:111]
	v_mov_b64_e32 v[110:111], v[66:67]
	;; [unrolled: 2-line block ×3, first 2 shown]
	v_fmac_f64_e32 v[8:9], v[108:109], v[110:111]
	v_mul_f64 v[110:111], v[102:103], v[108:109]
	v_mul_f64 v[8:9], v[110:111], v[8:9]
	v_fmac_f64_e32 v[8:9], s[38:39], v[102:103]
	v_mov_b64_e32 v[102:103], v[70:71]
	v_fmac_f64_e32 v[102:103], s[40:41], v[108:109]
	v_mov_b64_e32 v[110:111], v[72:73]
	;; [unrolled: 2-line block ×6, first 2 shown]
	v_fmac_f64_e32 v[110:111], v[108:109], v[102:103]
	v_lshlrev_b32_e32 v0, 30, v5
	v_and_b32_e32 v5, 1, v5
	v_fma_f64 v[102:103], v[108:109], v[110:111], 1.0
	v_cmp_eq_u32_e64 s[0:1], 0, v5
	v_cmp_lg_f64_e32 vcc, s[30:31], v[10:11]
	s_and_saveexec_b64 s[54:55], s[2:3]
	s_cbranch_execz .LBB0_20
; %bb.19:                               ;   in Loop: Header=BB0_8 Depth=1
	v_xor_b32_e32 v11, v0, v11
	v_cndmask_b32_e64 v10, v103, v9, s[0:1]
	v_and_b32_e32 v11, 0x80000000, v11
	v_cndmask_b32_e64 v5, v102, v8, s[0:1]
	v_xor_b32_e32 v11, v10, v11
	v_cndmask_b32_e32 v10, 0, v5, vcc
	v_cndmask_b32_e32 v11, v31, v11, vcc
	v_mul_f64 v[10:11], v[6:7], v[10:11]
	v_mov_b64_e32 v[110:111], s[12:13]
	v_fma_f64 v[10:11], s[14:15], v[10:11], v[110:111]
	v_mul_f64 v[110:111], v[10:11], s[42:43]
	v_rndne_f64_e32 v[110:111], v[110:111]
	s_mov_b32 s44, s26
	v_fma_f64 v[112:113], s[44:45], v[110:111], v[10:11]
	s_mov_b32 s46, s28
	v_fmac_f64_e32 v[112:113], s[46:47], v[110:111]
	v_mov_b64_e32 v[114:115], v[82:83]
	v_fmac_f64_e32 v[114:115], s[48:49], v[112:113]
	v_mov_b64_e32 v[116:117], v[84:85]
	;; [unrolled: 2-line block ×9, first 2 shown]
	v_fmac_f64_e32 v[114:115], v[112:113], v[116:117]
	v_fma_f64 v[114:115], v[112:113], v[114:115], 1.0
	v_fma_f64 v[112:113], v[112:113], v[114:115], 1.0
	v_cvt_i32_f64_e32 v5, v[110:111]
	v_add_u32_e32 v108, s58, v21
	v_ldexp_f64 v[110:111], v[112:113], v5
	v_cmp_nlt_f64_e64 s[2:3], s[50:51], v[10:11]
	v_cmp_ngt_f64_e64 s[4:5], s[52:53], v[10:11]
	v_ashrrev_i32_e32 v109, 31, v108
	v_cndmask_b32_e64 v5, v27, v111, s[2:3]
	s_and_b64 s[2:3], s[4:5], s[2:3]
	v_lshl_add_u64 v[108:109], s[18:19], 0, v[108:109]
	v_cndmask_b32_e64 v11, 0, v5, s[4:5]
	v_cndmask_b32_e64 v10, 0, v110, s[2:3]
	global_store_dwordx2 v[108:109], v[10:11], off
.LBB0_20:                               ;   in Loop: Header=BB0_8 Depth=1
	s_or_b64 exec, exec, s[54:55]
	v_lshl_add_u64 v[10:11], s[10:11], 0, v[14:15]
	v_cmp_gt_i64_e64 s[2:3], s[8:9], v[10:11]
	s_and_saveexec_b64 s[4:5], s[2:3]
	s_cbranch_execz .LBB0_7
; %bb.21:                               ;   in Loop: Header=BB0_8 Depth=1
	v_xor_b32_e32 v5, 0x80000000, v9
	v_and_b32_e32 v0, 0x80000000, v0
	v_cndmask_b32_e64 v5, v5, v103, s[0:1]
	v_cndmask_b32_e64 v8, v8, v102, s[0:1]
	v_xor_b32_e32 v0, v5, v0
	v_cndmask_b32_e32 v9, v31, v0, vcc
	v_cndmask_b32_e32 v8, 0, v8, vcc
	v_mul_f64 v[6:7], v[6:7], v[8:9]
	v_mov_b64_e32 v[10:11], s[12:13]
	v_fma_f64 v[6:7], s[14:15], v[6:7], v[10:11]
	v_mul_f64 v[10:11], v[6:7], s[42:43]
	v_rndne_f64_e32 v[10:11], v[10:11]
	s_mov_b32 s44, s26
	v_fma_f64 v[102:103], s[44:45], v[10:11], v[6:7]
	s_mov_b32 s46, s28
	v_fmac_f64_e32 v[102:103], s[46:47], v[10:11]
	v_mov_b64_e32 v[108:109], v[82:83]
	v_fmac_f64_e32 v[108:109], s[48:49], v[102:103]
	v_mov_b64_e32 v[110:111], v[84:85]
	;; [unrolled: 2-line block ×9, first 2 shown]
	v_fmac_f64_e32 v[108:109], v[102:103], v[110:111]
	v_fma_f64 v[108:109], v[102:103], v[108:109], 1.0
	v_fma_f64 v[102:103], v[102:103], v[108:109], 1.0
	v_cvt_i32_f64_e32 v0, v[10:11]
	v_add_u32_e32 v8, s58, v23
	v_ldexp_f64 v[10:11], v[102:103], v0
	v_cmp_nlt_f64_e32 vcc, s[50:51], v[6:7]
	v_cmp_ngt_f64_e64 s[0:1], s[52:53], v[6:7]
	v_ashrrev_i32_e32 v9, 31, v8
	v_cndmask_b32_e32 v0, v27, v11, vcc
	s_and_b64 vcc, s[0:1], vcc
	v_lshl_add_u64 v[8:9], s[18:19], 0, v[8:9]
	v_cndmask_b32_e64 v7, 0, v0, s[0:1]
	v_cndmask_b32_e32 v6, 0, v10, vcc
	global_store_dwordx2 v[8:9], v[6:7], off
	s_branch .LBB0_7
.LBB0_22:
	s_endpgm
.LBB0_23:
                                        ; implicit-def: $sgpr12_sgpr13
	s_andn2_b64 vcc, exec, s[4:5]
	s_cbranch_vccz .LBB0_4
	s_branch .LBB0_5
	.section	.rodata,"a",@progbits
	.p2align	6, 0x0
	.amdhsa_kernel _ZN2at6native12_GLOBAL__N_143distribution_elementwise_grid_stride_kernelIdLi2EZNS0_9templates4cuda20normal_and_transformIddPNS_17CUDAGeneratorImplEZZZNS4_17log_normal_kernelIS7_EEvRNS_18TensorIteratorBaseEddT_ENKUlvE_clEvENKUlvE_clEvEUldE_EEvSA_T1_T2_EUlP25hiprandStatePhilox4_32_10E_ZNS1_27distribution_nullary_kernelIdd15HIP_vector_typeIdLj2EES7_SJ_SE_EEvSA_SG_RKT3_T4_EUlidE_EEvlNS_15PhiloxCudaStateESF_SG_
		.amdhsa_group_segment_fixed_size 0
		.amdhsa_private_segment_fixed_size 0
		.amdhsa_kernarg_size 336
		.amdhsa_user_sgpr_count 2
		.amdhsa_user_sgpr_dispatch_ptr 0
		.amdhsa_user_sgpr_queue_ptr 0
		.amdhsa_user_sgpr_kernarg_segment_ptr 1
		.amdhsa_user_sgpr_dispatch_id 0
		.amdhsa_user_sgpr_kernarg_preload_length 0
		.amdhsa_user_sgpr_kernarg_preload_offset 0
		.amdhsa_user_sgpr_private_segment_size 0
		.amdhsa_uses_dynamic_stack 0
		.amdhsa_enable_private_segment 0
		.amdhsa_system_sgpr_workgroup_id_x 1
		.amdhsa_system_sgpr_workgroup_id_y 0
		.amdhsa_system_sgpr_workgroup_id_z 0
		.amdhsa_system_sgpr_workgroup_info 0
		.amdhsa_system_vgpr_workitem_id 0
		.amdhsa_next_free_vgpr 120
		.amdhsa_next_free_sgpr 59
		.amdhsa_accum_offset 120
		.amdhsa_reserve_vcc 1
		.amdhsa_float_round_mode_32 0
		.amdhsa_float_round_mode_16_64 0
		.amdhsa_float_denorm_mode_32 3
		.amdhsa_float_denorm_mode_16_64 3
		.amdhsa_dx10_clamp 1
		.amdhsa_ieee_mode 1
		.amdhsa_fp16_overflow 0
		.amdhsa_tg_split 0
		.amdhsa_exception_fp_ieee_invalid_op 0
		.amdhsa_exception_fp_denorm_src 0
		.amdhsa_exception_fp_ieee_div_zero 0
		.amdhsa_exception_fp_ieee_overflow 0
		.amdhsa_exception_fp_ieee_underflow 0
		.amdhsa_exception_fp_ieee_inexact 0
		.amdhsa_exception_int_div_zero 0
	.end_amdhsa_kernel
	.section	.text._ZN2at6native12_GLOBAL__N_143distribution_elementwise_grid_stride_kernelIdLi2EZNS0_9templates4cuda20normal_and_transformIddPNS_17CUDAGeneratorImplEZZZNS4_17log_normal_kernelIS7_EEvRNS_18TensorIteratorBaseEddT_ENKUlvE_clEvENKUlvE_clEvEUldE_EEvSA_T1_T2_EUlP25hiprandStatePhilox4_32_10E_ZNS1_27distribution_nullary_kernelIdd15HIP_vector_typeIdLj2EES7_SJ_SE_EEvSA_SG_RKT3_T4_EUlidE_EEvlNS_15PhiloxCudaStateESF_SG_,"axG",@progbits,_ZN2at6native12_GLOBAL__N_143distribution_elementwise_grid_stride_kernelIdLi2EZNS0_9templates4cuda20normal_and_transformIddPNS_17CUDAGeneratorImplEZZZNS4_17log_normal_kernelIS7_EEvRNS_18TensorIteratorBaseEddT_ENKUlvE_clEvENKUlvE_clEvEUldE_EEvSA_T1_T2_EUlP25hiprandStatePhilox4_32_10E_ZNS1_27distribution_nullary_kernelIdd15HIP_vector_typeIdLj2EES7_SJ_SE_EEvSA_SG_RKT3_T4_EUlidE_EEvlNS_15PhiloxCudaStateESF_SG_,comdat
.Lfunc_end0:
	.size	_ZN2at6native12_GLOBAL__N_143distribution_elementwise_grid_stride_kernelIdLi2EZNS0_9templates4cuda20normal_and_transformIddPNS_17CUDAGeneratorImplEZZZNS4_17log_normal_kernelIS7_EEvRNS_18TensorIteratorBaseEddT_ENKUlvE_clEvENKUlvE_clEvEUldE_EEvSA_T1_T2_EUlP25hiprandStatePhilox4_32_10E_ZNS1_27distribution_nullary_kernelIdd15HIP_vector_typeIdLj2EES7_SJ_SE_EEvSA_SG_RKT3_T4_EUlidE_EEvlNS_15PhiloxCudaStateESF_SG_, .Lfunc_end0-_ZN2at6native12_GLOBAL__N_143distribution_elementwise_grid_stride_kernelIdLi2EZNS0_9templates4cuda20normal_and_transformIddPNS_17CUDAGeneratorImplEZZZNS4_17log_normal_kernelIS7_EEvRNS_18TensorIteratorBaseEddT_ENKUlvE_clEvENKUlvE_clEvEUldE_EEvSA_T1_T2_EUlP25hiprandStatePhilox4_32_10E_ZNS1_27distribution_nullary_kernelIdd15HIP_vector_typeIdLj2EES7_SJ_SE_EEvSA_SG_RKT3_T4_EUlidE_EEvlNS_15PhiloxCudaStateESF_SG_
                                        ; -- End function
	.section	.AMDGPU.csdata,"",@progbits
; Kernel info:
; codeLenInByte = 4372
; NumSgprs: 65
; NumVgprs: 120
; NumAgprs: 0
; TotalNumVgprs: 120
; ScratchSize: 0
; MemoryBound: 0
; FloatMode: 240
; IeeeMode: 1
; LDSByteSize: 0 bytes/workgroup (compile time only)
; SGPRBlocks: 8
; VGPRBlocks: 14
; NumSGPRsForWavesPerEU: 65
; NumVGPRsForWavesPerEU: 120
; AccumOffset: 120
; Occupancy: 4
; WaveLimiterHint : 0
; COMPUTE_PGM_RSRC2:SCRATCH_EN: 0
; COMPUTE_PGM_RSRC2:USER_SGPR: 2
; COMPUTE_PGM_RSRC2:TRAP_HANDLER: 0
; COMPUTE_PGM_RSRC2:TGID_X_EN: 1
; COMPUTE_PGM_RSRC2:TGID_Y_EN: 0
; COMPUTE_PGM_RSRC2:TGID_Z_EN: 0
; COMPUTE_PGM_RSRC2:TIDIG_COMP_CNT: 0
; COMPUTE_PGM_RSRC3_GFX90A:ACCUM_OFFSET: 29
; COMPUTE_PGM_RSRC3_GFX90A:TG_SPLIT: 0
	.section	.text._ZN2at6native12_GLOBAL__N_143distribution_elementwise_grid_stride_kernelIdLi2EZNS0_9templates4cuda20normal_and_transformIddPNS_17CUDAGeneratorImplEZZZNS4_17log_normal_kernelIS7_EEvRNS_18TensorIteratorBaseEddT_ENKUlvE_clEvENKUlvE_clEvEUldE_EEvSA_T1_T2_EUlP25hiprandStatePhilox4_32_10E_ZNS1_27distribution_nullary_kernelIdd15HIP_vector_typeIdLj2EES7_SJ_SE_EEvSA_SG_RKT3_T4_EUlidE0_EEvlNS_15PhiloxCudaStateESF_SG_,"axG",@progbits,_ZN2at6native12_GLOBAL__N_143distribution_elementwise_grid_stride_kernelIdLi2EZNS0_9templates4cuda20normal_and_transformIddPNS_17CUDAGeneratorImplEZZZNS4_17log_normal_kernelIS7_EEvRNS_18TensorIteratorBaseEddT_ENKUlvE_clEvENKUlvE_clEvEUldE_EEvSA_T1_T2_EUlP25hiprandStatePhilox4_32_10E_ZNS1_27distribution_nullary_kernelIdd15HIP_vector_typeIdLj2EES7_SJ_SE_EEvSA_SG_RKT3_T4_EUlidE0_EEvlNS_15PhiloxCudaStateESF_SG_,comdat
	.globl	_ZN2at6native12_GLOBAL__N_143distribution_elementwise_grid_stride_kernelIdLi2EZNS0_9templates4cuda20normal_and_transformIddPNS_17CUDAGeneratorImplEZZZNS4_17log_normal_kernelIS7_EEvRNS_18TensorIteratorBaseEddT_ENKUlvE_clEvENKUlvE_clEvEUldE_EEvSA_T1_T2_EUlP25hiprandStatePhilox4_32_10E_ZNS1_27distribution_nullary_kernelIdd15HIP_vector_typeIdLj2EES7_SJ_SE_EEvSA_SG_RKT3_T4_EUlidE0_EEvlNS_15PhiloxCudaStateESF_SG_ ; -- Begin function _ZN2at6native12_GLOBAL__N_143distribution_elementwise_grid_stride_kernelIdLi2EZNS0_9templates4cuda20normal_and_transformIddPNS_17CUDAGeneratorImplEZZZNS4_17log_normal_kernelIS7_EEvRNS_18TensorIteratorBaseEddT_ENKUlvE_clEvENKUlvE_clEvEUldE_EEvSA_T1_T2_EUlP25hiprandStatePhilox4_32_10E_ZNS1_27distribution_nullary_kernelIdd15HIP_vector_typeIdLj2EES7_SJ_SE_EEvSA_SG_RKT3_T4_EUlidE0_EEvlNS_15PhiloxCudaStateESF_SG_
	.p2align	8
	.type	_ZN2at6native12_GLOBAL__N_143distribution_elementwise_grid_stride_kernelIdLi2EZNS0_9templates4cuda20normal_and_transformIddPNS_17CUDAGeneratorImplEZZZNS4_17log_normal_kernelIS7_EEvRNS_18TensorIteratorBaseEddT_ENKUlvE_clEvENKUlvE_clEvEUldE_EEvSA_T1_T2_EUlP25hiprandStatePhilox4_32_10E_ZNS1_27distribution_nullary_kernelIdd15HIP_vector_typeIdLj2EES7_SJ_SE_EEvSA_SG_RKT3_T4_EUlidE0_EEvlNS_15PhiloxCudaStateESF_SG_,@function
_ZN2at6native12_GLOBAL__N_143distribution_elementwise_grid_stride_kernelIdLi2EZNS0_9templates4cuda20normal_and_transformIddPNS_17CUDAGeneratorImplEZZZNS4_17log_normal_kernelIS7_EEvRNS_18TensorIteratorBaseEddT_ENKUlvE_clEvENKUlvE_clEvEUldE_EEvSA_T1_T2_EUlP25hiprandStatePhilox4_32_10E_ZNS1_27distribution_nullary_kernelIdd15HIP_vector_typeIdLj2EES7_SJ_SE_EEvSA_SG_RKT3_T4_EUlidE0_EEvlNS_15PhiloxCudaStateESF_SG_: ; @_ZN2at6native12_GLOBAL__N_143distribution_elementwise_grid_stride_kernelIdLi2EZNS0_9templates4cuda20normal_and_transformIddPNS_17CUDAGeneratorImplEZZZNS4_17log_normal_kernelIS7_EEvRNS_18TensorIteratorBaseEddT_ENKUlvE_clEvENKUlvE_clEvEUldE_EEvSA_T1_T2_EUlP25hiprandStatePhilox4_32_10E_ZNS1_27distribution_nullary_kernelIdd15HIP_vector_typeIdLj2EES7_SJ_SE_EEvSA_SG_RKT3_T4_EUlidE0_EEvlNS_15PhiloxCudaStateESF_SG_
; %bb.0:
	s_load_dword s3, s[0:1], 0x20
	s_load_dwordx2 s[4:5], s[0:1], 0x10
	s_load_dwordx4 s[24:27], s[0:1], 0x0
	s_mov_b32 s35, 0
	s_waitcnt lgkmcnt(0)
	s_bitcmp0_b32 s3, 0
	v_mov_b64_e32 v[2:3], s[4:5]
	v_mov_b64_e32 v[12:13], s[26:27]
	s_cbranch_scc1 .LBB1_2
; %bb.1:
	v_mov_b64_e32 v[4:5], s[4:5]
	v_mov_b64_e32 v[2:3], s[26:27]
	flat_load_dwordx2 v[6:7], v[4:5]
	flat_load_dwordx2 v[12:13], v[2:3]
	s_load_dwordx2 s[4:5], s[0:1], 0x18
	s_waitcnt vmcnt(0) lgkmcnt(0)
	v_lshl_add_u64 v[2:3], v[6:7], 0, s[4:5]
.LBB1_2:
	s_load_dword s4, s[0:1], 0x15c
	s_load_dword s3, s[0:1], 0x150
	s_mov_b32 s6, s35
	s_waitcnt lgkmcnt(0)
	s_and_b32 s8, s4, 0xffff
	s_add_u32 s9, s24, -1
	s_mul_i32 s26, s3, s8
	s_addc_u32 s7, s25, -1
	s_lshl_b32 s34, s26, 1
	s_cmp_lg_u64 s[6:7], 0
	s_mov_b64 s[4:5], -1
	s_cbranch_scc0 .LBB1_51
; %bb.3:
	v_cvt_f32_u32_e32 v1, s34
	v_cvt_f32_ubyte0_e32 v4, 0
	s_sub_u32 s6, 0, s34
	s_subb_u32 s10, 0, 0
	v_fmamk_f32 v1, v4, 0x4f800000, v1
	v_rcp_f32_e32 v1, v1
	s_nop 0
	v_mul_f32_e32 v1, 0x5f7ffffc, v1
	v_mul_f32_e32 v4, 0x2f800000, v1
	v_trunc_f32_e32 v4, v4
	v_fmamk_f32 v1, v4, 0xcf800000, v1
	v_cvt_u32_f32_e32 v4, v4
	v_cvt_u32_f32_e32 v1, v1
	v_readfirstlane_b32 s11, v4
	v_readfirstlane_b32 s12, v1
	s_mul_i32 s13, s6, s11
	s_mul_hi_u32 s15, s6, s12
	s_mul_i32 s14, s10, s12
	s_add_i32 s13, s15, s13
	s_add_i32 s13, s13, s14
	s_mul_i32 s16, s6, s12
	s_mul_hi_u32 s14, s12, s13
	s_mul_i32 s15, s12, s13
	s_mul_hi_u32 s12, s12, s16
	s_add_u32 s12, s12, s15
	s_addc_u32 s14, 0, s14
	s_mul_hi_u32 s17, s11, s16
	s_mul_i32 s16, s11, s16
	s_add_u32 s12, s12, s16
	s_mul_hi_u32 s15, s11, s13
	s_addc_u32 s12, s14, s17
	s_addc_u32 s14, s15, 0
	s_mul_i32 s13, s11, s13
	s_add_u32 s12, s12, s13
	s_addc_u32 s13, 0, s14
	v_add_co_u32_e32 v1, vcc, s12, v1
	s_cmp_lg_u64 vcc, 0
	s_addc_u32 s11, s11, s13
	v_readfirstlane_b32 s13, v1
	s_mul_i32 s12, s6, s11
	s_mul_hi_u32 s14, s6, s13
	s_add_i32 s12, s14, s12
	s_mul_i32 s10, s10, s13
	s_add_i32 s12, s12, s10
	s_mul_i32 s6, s6, s13
	s_mul_hi_u32 s14, s11, s6
	s_mul_i32 s15, s11, s6
	s_mul_i32 s17, s13, s12
	s_mul_hi_u32 s6, s13, s6
	s_mul_hi_u32 s16, s13, s12
	s_add_u32 s6, s6, s17
	s_addc_u32 s13, 0, s16
	s_add_u32 s6, s6, s15
	s_mul_hi_u32 s10, s11, s12
	s_addc_u32 s6, s13, s14
	s_addc_u32 s10, s10, 0
	s_mul_i32 s12, s11, s12
	s_add_u32 s6, s6, s12
	s_addc_u32 s10, 0, s10
	v_add_co_u32_e32 v1, vcc, s6, v1
	s_cmp_lg_u64 vcc, 0
	s_addc_u32 s12, s11, s10
	s_ashr_i32 s10, s7, 31
	s_add_u32 s6, s9, s10
	s_mov_b32 s11, s10
	s_addc_u32 s7, s7, s10
	s_xor_b64 s[6:7], s[6:7], s[10:11]
	v_readfirstlane_b32 s15, v1
	s_mul_i32 s14, s6, s12
	s_mul_hi_u32 s16, s6, s15
	s_mul_hi_u32 s13, s6, s12
	s_add_u32 s14, s16, s14
	s_addc_u32 s13, 0, s13
	s_mul_hi_u32 s17, s7, s15
	s_mul_i32 s15, s7, s15
	s_add_u32 s14, s14, s15
	s_mul_hi_u32 s16, s7, s12
	s_addc_u32 s13, s13, s17
	s_addc_u32 s14, s16, 0
	s_mul_i32 s12, s7, s12
	s_add_u32 s12, s13, s12
	s_addc_u32 s13, 0, s14
	s_add_u32 s14, s12, 1
	s_addc_u32 s15, s13, 0
	s_add_u32 s16, s12, 2
	s_mul_i32 s18, s34, s13
	s_mul_hi_u32 s19, s34, s12
	s_addc_u32 s17, s13, 0
	s_add_i32 s19, s19, s18
	s_mul_i32 s18, s34, s12
	v_mov_b32_e32 v1, s18
	v_sub_co_u32_e32 v1, vcc, s6, v1
	s_cmp_lg_u64 vcc, 0
	s_subb_u32 s6, s7, s19
	v_subrev_co_u32_e32 v4, vcc, s34, v1
	s_cmp_lg_u64 vcc, 0
	s_subb_u32 s7, s6, 0
	v_readfirstlane_b32 s18, v4
	s_cmp_ge_u32 s18, s34
	s_cselect_b32 s18, -1, 0
	s_cmp_eq_u32 s7, 0
	s_cselect_b32 s7, s18, -1
	s_cmp_lg_u32 s7, 0
	s_cselect_b32 s7, s17, s15
	v_readfirstlane_b32 s15, v1
	s_cselect_b32 s14, s16, s14
	s_cmp_ge_u32 s15, s34
	s_cselect_b32 s15, -1, 0
	s_cmp_eq_u32 s6, 0
	s_cselect_b32 s6, s15, -1
	s_cmp_lg_u32 s6, 0
	s_cselect_b32 s7, s7, s13
	s_cselect_b32 s6, s14, s12
	s_xor_b64 s[6:7], s[6:7], s[10:11]
	s_sub_u32 s6, s6, s10
	s_subb_u32 s7, s7, s10
	s_cbranch_execnz .LBB1_5
.LBB1_4:
	v_cvt_f32_u32_e32 v1, s34
	s_sub_i32 s4, 0, s34
	s_mov_b32 s7, 0
	v_rcp_iflag_f32_e32 v1, v1
	s_nop 0
	v_mul_f32_e32 v1, 0x4f7ffffe, v1
	v_cvt_u32_f32_e32 v1, v1
	s_nop 0
	v_readfirstlane_b32 s5, v1
	s_mul_i32 s4, s4, s5
	s_mul_hi_u32 s4, s5, s4
	s_add_i32 s5, s5, s4
	s_mul_hi_u32 s4, s9, s5
	s_mul_i32 s6, s4, s34
	s_sub_i32 s6, s9, s6
	s_add_i32 s5, s4, 1
	s_sub_i32 s9, s6, s34
	s_cmp_ge_u32 s6, s34
	s_cselect_b32 s4, s5, s4
	s_cselect_b32 s6, s9, s6
	s_add_i32 s5, s4, 1
	s_cmp_ge_u32 s6, s34
	s_cselect_b32 s6, s5, s4
.LBB1_5:
	v_mov_b32_e32 v1, 0
	v_mov_b32_e32 v4, s2
	v_mad_u64_u32 v[14:15], s[4:5], s8, v4, v[0:1]
	s_add_u32 s2, s6, 1
	s_addc_u32 s4, s7, 0
	s_mul_hi_u32 s3, s3, s8
	s_mul_i32 s4, s26, s4
	s_mul_hi_u32 s5, s26, s2
	s_add_i32 s4, s5, s4
	s_mul_i32 s3, s3, s2
	s_add_i32 s3, s4, s3
	s_mul_i32 s2, s26, s2
	s_lshl_b64 s[44:45], s[2:3], 1
	v_cmp_gt_i64_e32 vcc, s[44:45], v[14:15]
	s_and_saveexec_b64 s[2:3], vcc
	s_cbranch_execz .LBB1_50
; %bb.6:
	v_mov_b32_e32 v0, v13
	s_mov_b64 s[2:3], 0xdb3d7428
	v_lshl_add_u64 v[16:17], v[0:1], 0, s[2:3]
	s_mov_b64 s[2:3], 0x5384540f
	v_lshl_add_u64 v[18:19], v[12:13], 0, s[2:3]
	;; [unrolled: 2-line block ×7, first 2 shown]
	s_mov_b64 s[2:3], 0x9e3779b9
	v_alignbit_b32 v17, v3, v2, 2
	s_mov_b32 s33, 0xd2511f53
	v_lshl_add_u64 v[30:31], v[12:13], 0, s[2:3]
	v_mad_u64_u32 v[4:5], s[2:3], v17, s33, 0
	v_and_b32_e32 v106, 3, v2
	v_xor_b32_e32 v2, v5, v13
	v_xor_b32_e32 v2, v2, v15
	s_mov_b32 s60, 0xcd9e8d57
	v_mad_u64_u32 v[6:7], s[2:3], v2, s60, 0
	v_xor_b32_e32 v2, v30, v7
	v_mad_u64_u32 v[8:9], s[2:3], v14, s60, 0
	v_xor_b32_e32 v2, v2, v8
	;; [unrolled: 2-line block ×3, first 2 shown]
	v_lshrrev_b32_e32 v19, 2, v3
	v_xor_b32_e32 v2, v2, v19
	v_xor_b32_e32 v5, v28, v11
	v_mad_u64_u32 v[2:3], s[2:3], v2, s33, 0
	v_xor_b32_e32 v2, v5, v2
	v_mad_u64_u32 v[8:9], s[2:3], v2, s60, 0
	s_mov_b64 s[2:3], 0xbb67ae85
	s_nop 0
	v_lshl_add_u64 v[32:33], v[0:1], 0, s[2:3]
	v_xor_b32_e32 v2, v32, v3
	v_xor_b32_e32 v2, v2, v4
	v_xor_b32_e32 v5, v26, v9
	v_mad_u64_u32 v[2:3], s[2:3], v2, s60, 0
	v_xor_b32_e32 v2, v5, v2
	v_mad_u64_u32 v[4:5], s[2:3], v2, s33, 0
	s_mov_b64 s[2:3], 0x3c6ef372
	s_nop 0
	v_lshl_add_u64 v[34:35], v[12:13], 0, s[2:3]
	v_xor_b32_e32 v2, v34, v3
	;; [unrolled: 9-line block ×7, first 2 shown]
	v_xor_b32_e32 v0, v0, v10
	v_mad_u64_u32 v[2:3], s[2:3], v0, s60, 0
	s_mov_b64 s[2:3], 0xf1bbcdc8
	s_load_dwordx8 s[8:15], s[0:1], 0x30
	v_add_u32_e32 v107, 0x8ff34781, v12
	v_xor_b32_e32 v0, v49, v2
	v_lshl_add_u64 v[46:47], v[12:13], 0, s[2:3]
	v_xor_b32_e32 v6, v107, v0
	v_xor_b32_e32 v0, v46, v3
	;; [unrolled: 1-line block ×3, first 2 shown]
	s_add_u32 s46, s0, 48
	v_mad_u64_u32 v[2:3], s[2:3], v0, s33, 0
	s_addc_u32 s47, s1, 0
	s_waitcnt lgkmcnt(0)
	s_add_i32 s2, s8, -1
	s_cmp_gt_u32 s2, 1
	s_cselect_b64 s[48:49], -1, 0
	s_cmp_lg_u32 s8, 0
	s_cselect_b64 s[50:51], -1, 0
	s_add_u32 s52, s0, 0xf4
	s_addc_u32 s53, s1, 0
	s_min_u32 s3, s2, 15
	s_cmp_gt_u32 s8, 1
	s_cselect_b64 s[54:55], -1, 0
	s_load_dwordx2 s[56:57], s[0:1], 0x148
	s_load_dwordx2 s[58:59], s[0:1], 0xf4
	s_load_dwordx4 s[28:31], s[0:1], 0x138
	s_add_i32 s3, s3, 1
	s_mov_b32 s8, s13
	s_and_b32 s13, s3, 3
	s_cmp_lg_u32 s2, 2
	s_cselect_b64 s[98:99], -1, 0
	s_and_b32 s15, s3, 28
	v_add_u32_e32 v108, 0x96a522ad, v13
	v_xor_b32_e32 v0, v3, v4
	s_cmp_lg_u32 s13, 0
	s_mov_b32 s66, 0x55555555
	s_mov_b32 s68, 0xbf559e2b
	;; [unrolled: 1-line block ×14, first 2 shown]
	v_xor_b32_e32 v8, v108, v0
	v_mov_b32_e32 v7, v48
	v_mov_b32_e32 v9, v2
	s_mov_b64 s[62:63], 0
	s_cselect_b64 s[64:65], -1, 0
	s_mov_b32 s67, 0x3fe55555
	s_mov_b32 s69, 0x3fc3ab76
	;; [unrolled: 1-line block ×5, first 2 shown]
	s_brev_b32 s77, 8
	s_mov_b32 s79, 0x3f3e357e
	s_mov_b32 s81, 0x400921fb
	;; [unrolled: 1-line block ×9, first 2 shown]
	v_mov_b32_e32 v48, 0x6b47b09a
	v_mov_b32_e32 v49, 0x3fc38538
	;; [unrolled: 1-line block ×58, first 2 shown]
	s_branch .LBB1_9
.LBB1_7:                                ;   in Loop: Header=BB1_9 Depth=1
	v_xor_b32_e32 v5, 0x80000000, v9
	v_and_b32_e32 v0, 0x80000000, v0
	v_cndmask_b32_e64 v5, v5, v11, s[2:3]
	v_cndmask_b32_e64 v8, v8, v10, s[2:3]
	v_xor_b32_e32 v0, v5, v0
	v_cndmask_b32_e64 v9, v27, v0, s[0:1]
	v_cndmask_b32_e64 v8, 0, v8, s[0:1]
	v_mul_f64 v[6:7], v[6:7], v[8:9]
	s_waitcnt lgkmcnt(0)
	v_mov_b64_e32 v[8:9], s[30:31]
	v_fma_f64 v[6:7], s[56:57], v[6:7], v[8:9]
	v_mul_f64 v[8:9], v[6:7], s[84:85]
	v_rndne_f64_e32 v[8:9], v[8:9]
	s_mov_b32 s86, s70
	v_fma_f64 v[10:11], s[86:87], v[8:9], v[6:7]
	s_mov_b32 s88, s72
	v_fmac_f64_e32 v[10:11], s[88:89], v[8:9]
	v_mov_b64_e32 v[104:105], v[82:83]
	v_fmac_f64_e32 v[104:105], s[90:91], v[10:11]
	v_mov_b64_e32 v[110:111], v[84:85]
	;; [unrolled: 2-line block ×9, first 2 shown]
	v_fmac_f64_e32 v[104:105], v[10:11], v[110:111]
	v_fma_f64 v[104:105], v[10:11], v[104:105], 1.0
	v_fma_f64 v[10:11], v[10:11], v[104:105], 1.0
	v_cvt_i32_f64_e32 v0, v[8:9]
	v_ldexp_f64 v[8:9], v[10:11], v0
	v_cmp_nlt_f64_e32 vcc, s[92:93], v[6:7]
	v_cmp_ngt_f64_e64 s[0:1], s[94:95], v[6:7]
	s_nop 0
	v_cndmask_b32_e32 v0, v23, v9, vcc
	s_and_b64 vcc, s[0:1], vcc
	v_cndmask_b32_e64 v7, 0, v0, s[0:1]
	v_cndmask_b32_e32 v6, 0, v8, vcc
	global_store_dwordx2 v102, v[6:7], s[28:29]
.LBB1_8:                                ;   in Loop: Header=BB1_9 Depth=1
	s_or_b64 exec, exec, s[40:41]
	v_mov_b32_e32 v5, v100
	v_lshl_add_u64 v[14:15], v[14:15], 0, s[34:35]
	v_cmp_le_i64_e32 vcc, s[44:45], v[14:15]
	v_mov_b64_e32 v[8:9], v[4:5]
	s_or_b64 s[62:63], vcc, s[62:63]
	v_mov_b64_e32 v[6:7], v[2:3]
	s_waitcnt lgkmcnt(0)
	s_barrier
	s_andn2_b64 exec, exec, s[62:63]
	s_cbranch_execz .LBB1_50
.LBB1_9:                                ; =>This Loop Header: Depth=1
                                        ;     Child Loop BB1_24 Depth 2
                                        ;     Child Loop BB1_30 Depth 2
	;; [unrolled: 1-line block ×4, first 2 shown]
	v_add_co_u32_e32 v17, vcc, 1, v17
	v_mad_u64_u32 v[2:3], s[0:1], v17, s33, 0
	s_nop 0
	v_cndmask_b32_e64 v0, 0, 1, vcc
	v_addc_co_u32_e32 v19, vcc, 0, v19, vcc
	v_cmp_eq_u32_e32 vcc, 0, v19
	v_xor_b32_e32 v3, v3, v13
	s_nop 0
	v_cndmask_b32_e32 v0, 0, v0, vcc
	v_add_u32_e32 v29, v0, v29
	v_cmp_eq_u32_e32 vcc, 0, v29
	v_mad_u64_u32 v[4:5], s[0:1], v29, s60, 0
	s_nop 0
	v_cndmask_b32_e32 v0, 0, v0, vcc
	v_add_u32_e32 v31, v0, v31
	v_xor_b32_e32 v0, v5, v12
	v_xor_b32_e32 v0, v19, v0
	v_xor_b32_e32 v3, v31, v3
	v_mad_u64_u32 v[10:11], s[0:1], v0, s33, 0
	v_mad_u64_u32 v[100:101], s[0:1], v3, s60, 0
	v_xor_b32_e32 v0, v30, v101
	v_xor_b32_e32 v3, v32, v11
	v_xor_b32_e32 v0, v0, v4
	v_xor_b32_e32 v4, v3, v2
	v_mad_u64_u32 v[2:3], s[0:1], v0, s33, 0
	v_mad_u64_u32 v[4:5], s[0:1], v4, s60, 0
	v_xor_b32_e32 v0, v34, v5
	;; [unrolled: 6-line block ×9, first 2 shown]
	v_xor_b32_e32 v2, v107, v0
	v_xor_b32_e32 v0, v101, v4
	;; [unrolled: 1-line block ×3, first 2 shown]
	v_mov_b32_e32 v3, v10
	v_mov_b32_e32 v4, v11
	v_cmp_lt_i32_e32 vcc, 1, v106
	s_and_saveexec_b64 s[0:1], vcc
	s_xor_b64 s[0:1], exec, s[0:1]
	s_cbranch_execz .LBB1_15
; %bb.10:                               ;   in Loop: Header=BB1_9 Depth=1
	v_cmp_lt_i32_e32 vcc, 2, v106
	s_and_saveexec_b64 s[2:3], vcc
	s_xor_b64 s[2:3], exec, s[2:3]
; %bb.11:                               ;   in Loop: Header=BB1_9 Depth=1
	v_mov_b32_e32 v8, v9
	v_mov_b32_e32 v9, v2
	v_mov_b64_e32 v[6:7], v[8:9]
	v_mov_b64_e32 v[8:9], v[10:11]
                                        ; implicit-def: $vgpr10_vgpr11
; %bb.12:                               ;   in Loop: Header=BB1_9 Depth=1
	s_andn2_saveexec_b64 s[2:3], s[2:3]
; %bb.13:                               ;   in Loop: Header=BB1_9 Depth=1
	v_mov_b32_e32 v6, v8
	v_mov_b32_e32 v7, v9
	;; [unrolled: 1-line block ×4, first 2 shown]
; %bb.14:                               ;   in Loop: Header=BB1_9 Depth=1
	s_or_b64 exec, exec, s[2:3]
.LBB1_15:                               ;   in Loop: Header=BB1_9 Depth=1
	s_andn2_saveexec_b64 s[0:1], s[0:1]
	s_cbranch_execz .LBB1_19
; %bb.16:                               ;   in Loop: Header=BB1_9 Depth=1
	v_cmp_eq_u32_e32 vcc, 1, v106
	s_and_saveexec_b64 s[2:3], vcc
; %bb.17:                               ;   in Loop: Header=BB1_9 Depth=1
	v_mov_b32_e32 v6, v7
	v_mov_b32_e32 v7, v8
	;; [unrolled: 1-line block ×4, first 2 shown]
; %bb.18:                               ;   in Loop: Header=BB1_9 Depth=1
	s_or_b64 exec, exec, s[2:3]
.LBB1_19:                               ;   in Loop: Header=BB1_9 Depth=1
	s_or_b64 exec, exec, s[0:1]
	v_mov_b32_e32 v0, v7
	v_lshlrev_b64 v[10:11], 21, v[0:1]
	v_xor_b32_e32 v0, v10, v6
	v_cvt_f64_u32_e32 v[6:7], v11
	v_ldexp_f64 v[6:7], v[6:7], 32
	v_cvt_f64_u32_e32 v[10:11], v0
	v_add_f64 v[6:7], v[6:7], v[10:11]
	v_mov_b32_e32 v10, 0
	v_mov_b32_e32 v11, 0x3ca00000
	v_fmac_f64_e32 v[10:11], 0x3ca00000, v[6:7]
	v_frexp_mant_f64_e32 v[102:103], v[10:11]
	v_cmp_gt_f64_e32 vcc, s[66:67], v[102:103]
	v_mov_b32_e32 v5, 0x3ff00000
	v_mov_b32_e32 v104, v1
	v_cndmask_b32_e64 v105, v5, 2.0, vcc
	v_mul_f64 v[102:103], v[102:103], v[104:105]
	v_add_f64 v[104:105], v[102:103], 1.0
	v_rcp_f64_e32 v[110:111], v[104:105]
	v_add_f64 v[114:115], v[104:105], -1.0
	v_add_f64 v[112:113], v[102:103], -1.0
	v_add_f64 v[102:103], v[102:103], -v[114:115]
	v_fma_f64 v[114:115], -v[104:105], v[110:111], 1.0
	v_fmac_f64_e32 v[110:111], v[114:115], v[110:111]
	v_fma_f64 v[114:115], -v[104:105], v[110:111], 1.0
	v_fmac_f64_e32 v[110:111], v[114:115], v[110:111]
	v_mul_f64 v[114:115], v[112:113], v[110:111]
	v_mul_f64 v[116:117], v[104:105], v[114:115]
	v_fma_f64 v[104:105], v[114:115], v[104:105], -v[116:117]
	v_fmac_f64_e32 v[104:105], v[114:115], v[102:103]
	v_add_f64 v[102:103], v[116:117], v[104:105]
	v_add_f64 v[118:119], v[112:113], -v[102:103]
	v_add_f64 v[116:117], v[102:103], -v[116:117]
	v_add_f64 v[112:113], v[112:113], -v[118:119]
	v_add_f64 v[102:103], v[112:113], -v[102:103]
	v_add_f64 v[104:105], v[116:117], -v[104:105]
	v_add_f64 v[102:103], v[104:105], v[102:103]
	v_add_f64 v[102:103], v[118:119], v[102:103]
	v_mul_f64 v[102:103], v[110:111], v[102:103]
	v_add_f64 v[104:105], v[114:115], v[102:103]
	v_add_f64 v[110:111], v[104:105], -v[114:115]
	v_add_f64 v[102:103], v[102:103], -v[110:111]
	v_mul_f64 v[110:111], v[104:105], v[104:105]
	v_mov_b64_e32 v[112:113], v[48:49]
	v_fmac_f64_e32 v[112:113], s[68:69], v[110:111]
	v_mov_b64_e32 v[114:115], v[50:51]
	v_fmac_f64_e32 v[114:115], v[110:111], v[112:113]
	;; [unrolled: 2-line block ×6, first 2 shown]
	v_ldexp_f64 v[112:113], v[104:105], 1
	v_mul_f64 v[104:105], v[104:105], v[110:111]
	v_mul_f64 v[104:105], v[104:105], v[114:115]
	v_add_f64 v[110:111], v[112:113], v[104:105]
	v_mov_b32_e32 v0, v9
	v_add_f64 v[112:113], v[110:111], -v[112:113]
	v_lshlrev_b64 v[6:7], 21, v[0:1]
	v_ldexp_f64 v[102:103], v[102:103], 1
	v_add_f64 v[104:105], v[104:105], -v[112:113]
	v_xor_b32_e32 v0, v6, v8
	v_add_f64 v[102:103], v[102:103], v[104:105]
	v_cvt_f64_u32_e32 v[8:9], v0
	v_frexp_exp_i32_f64_e32 v0, v[10:11]
	v_add_f64 v[104:105], v[110:111], v[102:103]
	v_subbrev_co_u32_e32 v0, vcc, 0, v0, vcc
	v_add_f64 v[110:111], v[104:105], -v[110:111]
	v_add_f64 v[102:103], v[102:103], -v[110:111]
	v_cvt_f64_i32_e32 v[110:111], v0
	v_mul_f64 v[112:113], v[110:111], s[70:71]
	v_fma_f64 v[114:115], v[110:111], s[70:71], -v[112:113]
	v_fmac_f64_e32 v[114:115], s[72:73], v[110:111]
	v_add_f64 v[110:111], v[112:113], v[114:115]
	v_add_f64 v[112:113], v[110:111], -v[112:113]
	v_add_f64 v[112:113], v[114:115], -v[112:113]
	v_add_f64 v[114:115], v[110:111], v[104:105]
	v_add_f64 v[116:117], v[114:115], -v[110:111]
	v_add_f64 v[118:119], v[114:115], -v[116:117]
	;; [unrolled: 1-line block ×4, first 2 shown]
	v_add_f64 v[104:105], v[104:105], v[110:111]
	v_add_f64 v[110:111], v[112:113], v[102:103]
	v_add_f64 v[116:117], v[110:111], -v[112:113]
	v_add_f64 v[118:119], v[110:111], -v[116:117]
	v_add_f64 v[104:105], v[110:111], v[104:105]
	v_add_f64 v[112:113], v[112:113], -v[118:119]
	v_add_f64 v[102:103], v[102:103], -v[116:117]
	v_add_f64 v[110:111], v[114:115], v[104:105]
	v_add_f64 v[102:103], v[102:103], v[112:113]
	v_add_f64 v[112:113], v[110:111], -v[114:115]
	v_add_f64 v[104:105], v[104:105], -v[112:113]
	v_add_f64 v[102:103], v[102:103], v[104:105]
	v_add_f64 v[102:103], v[110:111], v[102:103]
	v_cmp_eq_f64_e32 vcc, s[74:75], v[10:11]
	v_cvt_f64_u32_e32 v[6:7], v7
	v_ldexp_f64 v[6:7], v[6:7], 32
	v_cndmask_b32_e32 v103, v103, v11, vcc
	v_cndmask_b32_e32 v102, v102, v10, vcc
	v_mul_f64 v[102:103], v[102:103], -2.0
	v_cmp_neq_f64_e32 vcc, 0, v[10:11]
	v_add_f64 v[6:7], v[6:7], v[8:9]
	s_nop 0
	v_cndmask_b32_e32 v11, v23, v103, vcc
	v_cndmask_b32_e32 v10, 0, v102, vcc
	v_cmp_gt_f64_e32 vcc, s[76:77], v[10:11]
	v_mov_b32_e32 v102, 0
	v_mov_b32_e32 v103, 0x3cb00000
	v_cndmask_b32_e64 v0, 0, 1, vcc
	v_lshlrev_b32_e32 v0, 8, v0
	v_ldexp_f64 v[10:11], v[10:11], v0
	v_rsq_f64_e32 v[104:105], v[10:11]
	v_fmac_f64_e32 v[102:103], 0x3cb00000, v[6:7]
	v_cndmask_b32_e32 v0, 0, v25, vcc
	v_cmp_class_f64_e32 vcc, v[10:11], v21
	v_mul_f64 v[6:7], v[10:11], v[104:105]
	v_mul_f64 v[8:9], v[104:105], 0.5
	v_fma_f64 v[104:105], -v[8:9], v[6:7], 0.5
	v_fmac_f64_e32 v[6:7], v[6:7], v[104:105]
	v_fma_f64 v[110:111], -v[6:7], v[6:7], v[10:11]
	v_fmac_f64_e32 v[8:9], v[8:9], v[104:105]
	v_fmac_f64_e32 v[6:7], v[110:111], v[8:9]
	v_fma_f64 v[104:105], -v[6:7], v[6:7], v[10:11]
	v_fmac_f64_e32 v[6:7], v[104:105], v[8:9]
	v_ldexp_f64 v[6:7], v[6:7], v0
	v_mul_f64 v[8:9], v[102:103], 0.5
	v_cndmask_b32_e32 v7, v7, v11, vcc
	v_cndmask_b32_e32 v6, v6, v10, vcc
	v_fract_f64_e32 v[10:11], v[8:9]
	v_add_f64 v[10:11], v[10:11], v[10:11]
	v_cmp_neq_f64_e32 vcc, s[74:75], v[8:9]
	v_mov_b64_e32 v[110:111], v[62:63]
	v_cmp_lg_f64_e64 s[0:1], s[74:75], v[102:103]
	v_cndmask_b32_e32 v0, 0, v10, vcc
	v_cndmask_b32_e32 v5, 0, v11, vcc
	v_cmp_lt_f64_e32 vcc, 1.0, v[102:103]
	s_nop 1
	v_cndmask_b32_e32 v11, v103, v5, vcc
	v_cndmask_b32_e32 v10, v102, v0, vcc
	v_add_f64 v[8:9], v[10:11], v[10:11]
	v_rndne_f64_e32 v[8:9], v[8:9]
	v_fmac_f64_e32 v[10:11], -0.5, v[8:9]
	v_cvt_i32_f64_e32 v5, v[8:9]
	v_mul_f64 v[104:105], v[10:11], v[10:11]
	v_mov_b64_e32 v[8:9], v[60:61]
	v_fmac_f64_e32 v[8:9], s[78:79], v[104:105]
	v_fmac_f64_e32 v[110:111], v[104:105], v[8:9]
	v_mov_b64_e32 v[8:9], v[64:65]
	v_fmac_f64_e32 v[8:9], v[104:105], v[110:111]
	v_mov_b64_e32 v[110:111], v[66:67]
	;; [unrolled: 2-line block ×3, first 2 shown]
	v_fmac_f64_e32 v[8:9], v[104:105], v[110:111]
	v_mul_f64 v[110:111], v[10:11], v[104:105]
	v_mul_f64 v[8:9], v[110:111], v[8:9]
	v_fmac_f64_e32 v[8:9], s[80:81], v[10:11]
	v_mov_b64_e32 v[10:11], v[70:71]
	v_fmac_f64_e32 v[10:11], s[82:83], v[104:105]
	v_mov_b64_e32 v[110:111], v[72:73]
	;; [unrolled: 2-line block ×6, first 2 shown]
	v_lshlrev_b32_e32 v0, 30, v5
	v_and_b32_e32 v5, 1, v5
	v_fmac_f64_e32 v[110:111], v[104:105], v[10:11]
	v_cmp_eq_u32_e64 s[2:3], 0, v5
	v_cndmask_b32_e64 v5, 0, 1, s[48:49]
	v_fma_f64 v[10:11], v[104:105], v[110:111], 1.0
	v_cmp_gt_i64_e32 vcc, s[24:25], v[14:15]
	v_cmp_ne_u32_e64 s[4:5], 1, v5
	s_and_saveexec_b64 s[96:97], vcc
	s_cbranch_execz .LBB1_35
; %bb.20:                               ;   in Loop: Header=BB1_9 Depth=1
	s_and_b64 vcc, exec, s[4:5]
	s_cbranch_vccnz .LBB1_26
; %bb.21:                               ;   in Loop: Header=BB1_9 Depth=1
	s_andn2_b64 vcc, exec, s[50:51]
	s_cbranch_vccnz .LBB1_27
; %bb.22:                               ;   in Loop: Header=BB1_9 Depth=1
	s_mov_b32 s16, 0
	s_andn2_b64 vcc, exec, s[98:99]
	v_mov_b32_e32 v104, 0
	s_cbranch_vccnz .LBB1_28
; %bb.23:                               ;   in Loop: Header=BB1_9 Depth=1
	s_mov_b64 vcc, s[98:99]
	s_mov_b32 s61, 0
	v_mov_b32_e32 v104, 0
	s_mov_b64 s[6:7], s[46:47]
	s_mov_b64 s[98:99], s[52:53]
	v_mov_b32_e32 v5, v14
.LBB1_24:                               ;   Parent Loop BB1_9 Depth=1
                                        ; =>  This Inner Loop Header: Depth=2
	s_load_dwordx8 s[16:23], s[6:7], 0x4
	s_load_dwordx4 s[36:39], s[6:7], 0x24
	s_load_dwordx4 s[40:43], s[98:99], 0x0
	s_add_u32 s6, s6, 48
	s_addc_u32 s7, s7, 0
	s_waitcnt lgkmcnt(0)
	v_mul_hi_u32 v33, s17, v5
	v_add_u32_e32 v33, v5, v33
	v_lshrrev_b32_e32 v33, s18, v33
	v_mul_lo_u32 v35, v33, s16
	v_mul_hi_u32 v37, s20, v33
	v_sub_u32_e32 v5, v5, v35
	v_add_u32_e32 v35, v33, v37
	v_lshrrev_b32_e32 v35, s21, v35
	v_mul_lo_u32 v37, v35, s19
	v_mul_hi_u32 v39, s23, v35
	v_sub_u32_e32 v33, v33, v37
	v_add_u32_e32 v37, v35, v39
	v_mul_lo_u32 v5, v5, s40
	v_mul_lo_u32 v33, v33, s41
	v_lshrrev_b32_e32 v37, s36, v37
	v_add3_u32 v33, v5, v104, v33
	v_mul_lo_u32 v5, v37, s22
	v_mul_hi_u32 v39, s38, v37
	v_sub_u32_e32 v5, v35, v5
	v_add_u32_e32 v35, v37, v39
	v_mul_lo_u32 v39, v5, s42
	v_lshrrev_b32_e32 v5, s39, v35
	s_add_i32 s61, s61, 4
	v_mul_lo_u32 v35, v5, s37
	s_add_u32 s98, s98, 16
	v_sub_u32_e32 v35, v37, v35
	s_addc_u32 s99, s99, 0
	v_mul_lo_u32 v35, v35, s43
	s_cmp_lg_u32 s15, s61
	v_add3_u32 v104, v39, v33, v35
	s_cbranch_scc1 .LBB1_24
; %bb.25:                               ;   in Loop: Header=BB1_9 Depth=1
	s_mov_b32 s16, s15
	s_mov_b64 s[98:99], vcc
	s_andn2_b64 vcc, exec, s[64:65]
	s_cbranch_vccz .LBB1_29
	s_branch .LBB1_31
.LBB1_26:                               ;   in Loop: Header=BB1_9 Depth=1
                                        ; implicit-def: $vgpr104
	s_branch .LBB1_32
.LBB1_27:                               ;   in Loop: Header=BB1_9 Depth=1
	v_mov_b32_e32 v104, 0
	s_branch .LBB1_31
.LBB1_28:                               ;   in Loop: Header=BB1_9 Depth=1
	v_mov_b32_e32 v5, v14
	s_andn2_b64 vcc, exec, s[64:65]
	s_cbranch_vccnz .LBB1_31
.LBB1_29:                               ;   in Loop: Header=BB1_9 Depth=1
	s_lshl_b32 s6, s16, 2
	s_add_u32 s6, s52, s6
	s_addc_u32 s7, s53, 0
	s_mul_i32 s16, s16, 12
	s_add_u32 s16, s46, s16
	s_addc_u32 s17, s47, 0
	s_mov_b32 s18, s13
.LBB1_30:                               ;   Parent Loop BB1_9 Depth=1
                                        ; =>  This Inner Loop Header: Depth=2
	s_load_dwordx2 s[20:21], s[16:17], 0x4
	s_load_dword s19, s[16:17], 0xc
	s_load_dword s22, s[6:7], 0x0
	s_add_u32 s16, s16, 12
	s_addc_u32 s17, s17, 0
	s_waitcnt lgkmcnt(0)
	v_mul_hi_u32 v33, s21, v5
	v_add_u32_e32 v33, v5, v33
	v_lshrrev_b32_e32 v33, s19, v33
	s_add_u32 s6, s6, 4
	v_mul_lo_u32 v35, v33, s20
	s_addc_u32 s7, s7, 0
	s_add_i32 s18, s18, -1
	v_sub_u32_e32 v35, v5, v35
	s_cmp_lg_u32 s18, 0
	v_mov_b32_e32 v5, v33
	v_mad_u64_u32 v[104:105], s[20:21], v35, s22, v[104:105]
	s_cbranch_scc1 .LBB1_30
.LBB1_31:                               ;   in Loop: Header=BB1_9 Depth=1
	s_cbranch_execnz .LBB1_34
.LBB1_32:                               ;   in Loop: Header=BB1_9 Depth=1
	v_mul_hi_u32 v5, v14, s10
	v_add_u32_e32 v5, v5, v14
	v_lshrrev_b32_e32 v5, s11, v5
	v_mul_lo_u32 v33, v5, s9
	v_sub_u32_e32 v33, v14, v33
	s_andn2_b64 vcc, exec, s[54:55]
	s_waitcnt lgkmcnt(0)
	v_mul_lo_u32 v104, v33, s58
	s_cbranch_vccnz .LBB1_34
; %bb.33:                               ;   in Loop: Header=BB1_9 Depth=1
	v_mul_hi_u32 v33, s8, v5
	v_add_u32_e32 v33, v5, v33
	v_lshrrev_b32_e32 v33, s14, v33
	v_mul_lo_u32 v33, v33, s12
	v_sub_u32_e32 v5, v5, v33
	v_mad_u64_u32 v[104:105], s[6:7], v5, s59, v[104:105]
.LBB1_34:                               ;   in Loop: Header=BB1_9 Depth=1
	v_xor_b32_e32 v35, v0, v103
	v_cndmask_b32_e64 v33, v11, v9, s[2:3]
	v_and_b32_e32 v35, 0x80000000, v35
	v_cndmask_b32_e64 v5, v10, v8, s[2:3]
	v_xor_b32_e32 v33, v33, v35
	v_cndmask_b32_e64 v102, 0, v5, s[0:1]
	v_cndmask_b32_e64 v103, v27, v33, s[0:1]
	v_mul_f64 v[102:103], v[6:7], v[102:103]
	s_waitcnt lgkmcnt(0)
	v_mov_b64_e32 v[110:111], s[30:31]
	v_fma_f64 v[102:103], s[56:57], v[102:103], v[110:111]
	v_mul_f64 v[110:111], v[102:103], s[84:85]
	v_rndne_f64_e32 v[110:111], v[110:111]
	s_mov_b32 s86, s70
	v_fma_f64 v[112:113], s[86:87], v[110:111], v[102:103]
	s_mov_b32 s88, s72
	v_fmac_f64_e32 v[112:113], s[88:89], v[110:111]
	v_mov_b64_e32 v[114:115], v[82:83]
	v_fmac_f64_e32 v[114:115], s[90:91], v[112:113]
	v_mov_b64_e32 v[116:117], v[84:85]
	;; [unrolled: 2-line block ×9, first 2 shown]
	v_fmac_f64_e32 v[114:115], v[112:113], v[116:117]
	v_fma_f64 v[114:115], v[112:113], v[114:115], 1.0
	v_fma_f64 v[112:113], v[112:113], v[114:115], 1.0
	v_cvt_i32_f64_e32 v5, v[110:111]
	v_ldexp_f64 v[110:111], v[112:113], v5
	v_cmp_nlt_f64_e32 vcc, s[92:93], v[102:103]
	v_cmp_ngt_f64_e64 s[6:7], s[94:95], v[102:103]
	s_nop 0
	v_cndmask_b32_e32 v5, v23, v111, vcc
	s_and_b64 vcc, s[6:7], vcc
	v_cndmask_b32_e64 v103, 0, v5, s[6:7]
	v_cndmask_b32_e32 v102, 0, v110, vcc
	global_store_dwordx2 v104, v[102:103], s[28:29]
.LBB1_35:                               ;   in Loop: Header=BB1_9 Depth=1
	s_or_b64 exec, exec, s[96:97]
	v_lshl_add_u64 v[104:105], v[14:15], 0, s[26:27]
	v_cmp_gt_i64_e32 vcc, s[24:25], v[104:105]
	s_and_saveexec_b64 s[40:41], vcc
	s_cbranch_execz .LBB1_8
; %bb.36:                               ;   in Loop: Header=BB1_9 Depth=1
	s_and_b64 vcc, exec, s[4:5]
	s_cbranch_vccnz .LBB1_42
; %bb.37:                               ;   in Loop: Header=BB1_9 Depth=1
	s_andn2_b64 vcc, exec, s[50:51]
	s_cbranch_vccnz .LBB1_43
; %bb.38:                               ;   in Loop: Header=BB1_9 Depth=1
	s_mov_b32 s6, 0
	s_andn2_b64 vcc, exec, s[98:99]
	v_mov_b32_e32 v102, 0
	s_cbranch_vccnz .LBB1_44
; %bb.39:                               ;   in Loop: Header=BB1_9 Depth=1
	s_mov_b32 s61, 0
	v_mov_b32_e32 v102, 0
	s_mov_b64 s[42:43], s[46:47]
	s_mov_b64 s[96:97], s[52:53]
	v_mov_b32_e32 v5, v104
.LBB1_40:                               ;   Parent Loop BB1_9 Depth=1
                                        ; =>  This Inner Loop Header: Depth=2
	s_load_dwordx8 s[16:23], s[42:43], 0x4
	s_load_dwordx4 s[4:7], s[42:43], 0x24
	s_load_dwordx4 s[36:39], s[96:97], 0x0
	s_add_u32 s42, s42, 48
	s_addc_u32 s43, s43, 0
	s_waitcnt lgkmcnt(0)
	v_mul_hi_u32 v33, s17, v5
	v_add_u32_e32 v33, v5, v33
	v_lshrrev_b32_e32 v33, s18, v33
	v_mul_lo_u32 v35, v33, s16
	v_mul_hi_u32 v37, s20, v33
	v_sub_u32_e32 v5, v5, v35
	v_add_u32_e32 v35, v33, v37
	v_lshrrev_b32_e32 v35, s21, v35
	v_mul_lo_u32 v37, v35, s19
	v_mul_hi_u32 v39, s23, v35
	v_sub_u32_e32 v33, v33, v37
	v_add_u32_e32 v37, v35, v39
	v_mul_lo_u32 v5, v5, s36
	v_mul_lo_u32 v33, v33, s37
	v_lshrrev_b32_e32 v37, s4, v37
	v_add3_u32 v33, v5, v102, v33
	v_mul_lo_u32 v5, v37, s22
	v_mul_hi_u32 v39, s6, v37
	v_sub_u32_e32 v5, v35, v5
	v_add_u32_e32 v35, v37, v39
	v_mul_lo_u32 v39, v5, s38
	v_lshrrev_b32_e32 v5, s7, v35
	s_add_i32 s61, s61, 4
	v_mul_lo_u32 v35, v5, s5
	s_add_u32 s96, s96, 16
	v_sub_u32_e32 v35, v37, v35
	s_addc_u32 s97, s97, 0
	v_mul_lo_u32 v35, v35, s39
	s_cmp_eq_u32 s15, s61
	v_add3_u32 v102, v39, v33, v35
	s_cbranch_scc0 .LBB1_40
; %bb.41:                               ;   in Loop: Header=BB1_9 Depth=1
	s_mov_b32 s6, s15
	s_andn2_b64 vcc, exec, s[64:65]
	s_cbranch_vccz .LBB1_45
	s_branch .LBB1_47
.LBB1_42:                               ;   in Loop: Header=BB1_9 Depth=1
                                        ; implicit-def: $vgpr102
	s_branch .LBB1_48
.LBB1_43:                               ;   in Loop: Header=BB1_9 Depth=1
	v_mov_b32_e32 v102, 0
	s_branch .LBB1_47
.LBB1_44:                               ;   in Loop: Header=BB1_9 Depth=1
	v_mov_b32_e32 v5, v104
	s_andn2_b64 vcc, exec, s[64:65]
	s_cbranch_vccnz .LBB1_47
.LBB1_45:                               ;   in Loop: Header=BB1_9 Depth=1
	s_lshl_b32 s4, s6, 2
	s_add_u32 s4, s52, s4
	s_addc_u32 s5, s53, 0
	s_mul_i32 s6, s6, 12
	s_add_u32 s6, s46, s6
	s_addc_u32 s7, s47, 0
	s_mov_b32 s16, s13
.LBB1_46:                               ;   Parent Loop BB1_9 Depth=1
                                        ; =>  This Inner Loop Header: Depth=2
	s_load_dwordx2 s[18:19], s[6:7], 0x4
	s_load_dword s17, s[6:7], 0xc
	s_load_dword s20, s[4:5], 0x0
	s_add_u32 s6, s6, 12
	s_addc_u32 s7, s7, 0
	s_waitcnt lgkmcnt(0)
	v_mul_hi_u32 v33, s19, v5
	v_add_u32_e32 v33, v5, v33
	v_lshrrev_b32_e32 v33, s17, v33
	s_add_u32 s4, s4, 4
	v_mul_lo_u32 v35, v33, s18
	s_addc_u32 s5, s5, 0
	s_add_i32 s16, s16, -1
	v_sub_u32_e32 v35, v5, v35
	s_cmp_lg_u32 s16, 0
	v_mov_b32_e32 v5, v33
	v_mad_u64_u32 v[102:103], s[18:19], v35, s20, v[102:103]
	s_cbranch_scc1 .LBB1_46
.LBB1_47:                               ;   in Loop: Header=BB1_9 Depth=1
	s_cbranch_execnz .LBB1_7
.LBB1_48:                               ;   in Loop: Header=BB1_9 Depth=1
	v_mul_hi_u32 v5, v104, s10
	v_add_u32_e32 v5, v5, v104
	v_lshrrev_b32_e32 v5, s11, v5
	v_mul_lo_u32 v33, v5, s9
	v_sub_u32_e32 v33, v104, v33
	s_andn2_b64 vcc, exec, s[54:55]
	s_waitcnt lgkmcnt(0)
	v_mul_lo_u32 v102, v33, s58
	s_cbranch_vccnz .LBB1_7
; %bb.49:                               ;   in Loop: Header=BB1_9 Depth=1
	v_mul_hi_u32 v33, s8, v5
	v_add_u32_e32 v33, v5, v33
	v_lshrrev_b32_e32 v33, s14, v33
	v_mul_lo_u32 v33, v33, s12
	v_sub_u32_e32 v5, v5, v33
	v_mad_u64_u32 v[102:103], s[4:5], v5, s59, v[102:103]
	s_branch .LBB1_7
.LBB1_50:
	s_endpgm
.LBB1_51:
                                        ; implicit-def: $sgpr6_sgpr7
	s_andn2_b64 vcc, exec, s[4:5]
	s_cbranch_vccz .LBB1_4
	s_branch .LBB1_5
	.section	.rodata,"a",@progbits
	.p2align	6, 0x0
	.amdhsa_kernel _ZN2at6native12_GLOBAL__N_143distribution_elementwise_grid_stride_kernelIdLi2EZNS0_9templates4cuda20normal_and_transformIddPNS_17CUDAGeneratorImplEZZZNS4_17log_normal_kernelIS7_EEvRNS_18TensorIteratorBaseEddT_ENKUlvE_clEvENKUlvE_clEvEUldE_EEvSA_T1_T2_EUlP25hiprandStatePhilox4_32_10E_ZNS1_27distribution_nullary_kernelIdd15HIP_vector_typeIdLj2EES7_SJ_SE_EEvSA_SG_RKT3_T4_EUlidE0_EEvlNS_15PhiloxCudaStateESF_SG_
		.amdhsa_group_segment_fixed_size 0
		.amdhsa_private_segment_fixed_size 0
		.amdhsa_kernarg_size 592
		.amdhsa_user_sgpr_count 2
		.amdhsa_user_sgpr_dispatch_ptr 0
		.amdhsa_user_sgpr_queue_ptr 0
		.amdhsa_user_sgpr_kernarg_segment_ptr 1
		.amdhsa_user_sgpr_dispatch_id 0
		.amdhsa_user_sgpr_kernarg_preload_length 0
		.amdhsa_user_sgpr_kernarg_preload_offset 0
		.amdhsa_user_sgpr_private_segment_size 0
		.amdhsa_uses_dynamic_stack 0
		.amdhsa_enable_private_segment 0
		.amdhsa_system_sgpr_workgroup_id_x 1
		.amdhsa_system_sgpr_workgroup_id_y 0
		.amdhsa_system_sgpr_workgroup_id_z 0
		.amdhsa_system_sgpr_workgroup_info 0
		.amdhsa_system_vgpr_workitem_id 0
		.amdhsa_next_free_vgpr 120
		.amdhsa_next_free_sgpr 100
		.amdhsa_accum_offset 120
		.amdhsa_reserve_vcc 1
		.amdhsa_float_round_mode_32 0
		.amdhsa_float_round_mode_16_64 0
		.amdhsa_float_denorm_mode_32 3
		.amdhsa_float_denorm_mode_16_64 3
		.amdhsa_dx10_clamp 1
		.amdhsa_ieee_mode 1
		.amdhsa_fp16_overflow 0
		.amdhsa_tg_split 0
		.amdhsa_exception_fp_ieee_invalid_op 0
		.amdhsa_exception_fp_denorm_src 0
		.amdhsa_exception_fp_ieee_div_zero 0
		.amdhsa_exception_fp_ieee_overflow 0
		.amdhsa_exception_fp_ieee_underflow 0
		.amdhsa_exception_fp_ieee_inexact 0
		.amdhsa_exception_int_div_zero 0
	.end_amdhsa_kernel
	.section	.text._ZN2at6native12_GLOBAL__N_143distribution_elementwise_grid_stride_kernelIdLi2EZNS0_9templates4cuda20normal_and_transformIddPNS_17CUDAGeneratorImplEZZZNS4_17log_normal_kernelIS7_EEvRNS_18TensorIteratorBaseEddT_ENKUlvE_clEvENKUlvE_clEvEUldE_EEvSA_T1_T2_EUlP25hiprandStatePhilox4_32_10E_ZNS1_27distribution_nullary_kernelIdd15HIP_vector_typeIdLj2EES7_SJ_SE_EEvSA_SG_RKT3_T4_EUlidE0_EEvlNS_15PhiloxCudaStateESF_SG_,"axG",@progbits,_ZN2at6native12_GLOBAL__N_143distribution_elementwise_grid_stride_kernelIdLi2EZNS0_9templates4cuda20normal_and_transformIddPNS_17CUDAGeneratorImplEZZZNS4_17log_normal_kernelIS7_EEvRNS_18TensorIteratorBaseEddT_ENKUlvE_clEvENKUlvE_clEvEUldE_EEvSA_T1_T2_EUlP25hiprandStatePhilox4_32_10E_ZNS1_27distribution_nullary_kernelIdd15HIP_vector_typeIdLj2EES7_SJ_SE_EEvSA_SG_RKT3_T4_EUlidE0_EEvlNS_15PhiloxCudaStateESF_SG_,comdat
.Lfunc_end1:
	.size	_ZN2at6native12_GLOBAL__N_143distribution_elementwise_grid_stride_kernelIdLi2EZNS0_9templates4cuda20normal_and_transformIddPNS_17CUDAGeneratorImplEZZZNS4_17log_normal_kernelIS7_EEvRNS_18TensorIteratorBaseEddT_ENKUlvE_clEvENKUlvE_clEvEUldE_EEvSA_T1_T2_EUlP25hiprandStatePhilox4_32_10E_ZNS1_27distribution_nullary_kernelIdd15HIP_vector_typeIdLj2EES7_SJ_SE_EEvSA_SG_RKT3_T4_EUlidE0_EEvlNS_15PhiloxCudaStateESF_SG_, .Lfunc_end1-_ZN2at6native12_GLOBAL__N_143distribution_elementwise_grid_stride_kernelIdLi2EZNS0_9templates4cuda20normal_and_transformIddPNS_17CUDAGeneratorImplEZZZNS4_17log_normal_kernelIS7_EEvRNS_18TensorIteratorBaseEddT_ENKUlvE_clEvENKUlvE_clEvEUldE_EEvSA_T1_T2_EUlP25hiprandStatePhilox4_32_10E_ZNS1_27distribution_nullary_kernelIdd15HIP_vector_typeIdLj2EES7_SJ_SE_EEvSA_SG_RKT3_T4_EUlidE0_EEvlNS_15PhiloxCudaStateESF_SG_
                                        ; -- End function
	.section	.AMDGPU.csdata,"",@progbits
; Kernel info:
; codeLenInByte = 5452
; NumSgprs: 106
; NumVgprs: 120
; NumAgprs: 0
; TotalNumVgprs: 120
; ScratchSize: 0
; MemoryBound: 0
; FloatMode: 240
; IeeeMode: 1
; LDSByteSize: 0 bytes/workgroup (compile time only)
; SGPRBlocks: 13
; VGPRBlocks: 14
; NumSGPRsForWavesPerEU: 106
; NumVGPRsForWavesPerEU: 120
; AccumOffset: 120
; Occupancy: 4
; WaveLimiterHint : 1
; COMPUTE_PGM_RSRC2:SCRATCH_EN: 0
; COMPUTE_PGM_RSRC2:USER_SGPR: 2
; COMPUTE_PGM_RSRC2:TRAP_HANDLER: 0
; COMPUTE_PGM_RSRC2:TGID_X_EN: 1
; COMPUTE_PGM_RSRC2:TGID_Y_EN: 0
; COMPUTE_PGM_RSRC2:TGID_Z_EN: 0
; COMPUTE_PGM_RSRC2:TIDIG_COMP_CNT: 0
; COMPUTE_PGM_RSRC3_GFX90A:ACCUM_OFFSET: 29
; COMPUTE_PGM_RSRC3_GFX90A:TG_SPLIT: 0
	.section	.text._ZN2at6native12_GLOBAL__N_143distribution_elementwise_grid_stride_kernelIdLi2EZNS0_9templates4cuda20normal_and_transformIddPNS_17CUDAGeneratorImplEZZZNS4_17log_normal_kernelIS7_EEvRNS_18TensorIteratorBaseEddT_ENKUlvE_clEvENKUlvE_clEvEUldE_EEvSA_T1_T2_EUlP25hiprandStatePhilox4_32_10E0_ZNS1_27distribution_nullary_kernelIdd15HIP_vector_typeIfLj4EES7_SJ_SE_EEvSA_SG_RKT3_T4_EUlidE_EEvlNS_15PhiloxCudaStateESF_SG_,"axG",@progbits,_ZN2at6native12_GLOBAL__N_143distribution_elementwise_grid_stride_kernelIdLi2EZNS0_9templates4cuda20normal_and_transformIddPNS_17CUDAGeneratorImplEZZZNS4_17log_normal_kernelIS7_EEvRNS_18TensorIteratorBaseEddT_ENKUlvE_clEvENKUlvE_clEvEUldE_EEvSA_T1_T2_EUlP25hiprandStatePhilox4_32_10E0_ZNS1_27distribution_nullary_kernelIdd15HIP_vector_typeIfLj4EES7_SJ_SE_EEvSA_SG_RKT3_T4_EUlidE_EEvlNS_15PhiloxCudaStateESF_SG_,comdat
	.globl	_ZN2at6native12_GLOBAL__N_143distribution_elementwise_grid_stride_kernelIdLi2EZNS0_9templates4cuda20normal_and_transformIddPNS_17CUDAGeneratorImplEZZZNS4_17log_normal_kernelIS7_EEvRNS_18TensorIteratorBaseEddT_ENKUlvE_clEvENKUlvE_clEvEUldE_EEvSA_T1_T2_EUlP25hiprandStatePhilox4_32_10E0_ZNS1_27distribution_nullary_kernelIdd15HIP_vector_typeIfLj4EES7_SJ_SE_EEvSA_SG_RKT3_T4_EUlidE_EEvlNS_15PhiloxCudaStateESF_SG_ ; -- Begin function _ZN2at6native12_GLOBAL__N_143distribution_elementwise_grid_stride_kernelIdLi2EZNS0_9templates4cuda20normal_and_transformIddPNS_17CUDAGeneratorImplEZZZNS4_17log_normal_kernelIS7_EEvRNS_18TensorIteratorBaseEddT_ENKUlvE_clEvENKUlvE_clEvEUldE_EEvSA_T1_T2_EUlP25hiprandStatePhilox4_32_10E0_ZNS1_27distribution_nullary_kernelIdd15HIP_vector_typeIfLj4EES7_SJ_SE_EEvSA_SG_RKT3_T4_EUlidE_EEvlNS_15PhiloxCudaStateESF_SG_
	.p2align	8
	.type	_ZN2at6native12_GLOBAL__N_143distribution_elementwise_grid_stride_kernelIdLi2EZNS0_9templates4cuda20normal_and_transformIddPNS_17CUDAGeneratorImplEZZZNS4_17log_normal_kernelIS7_EEvRNS_18TensorIteratorBaseEddT_ENKUlvE_clEvENKUlvE_clEvEUldE_EEvSA_T1_T2_EUlP25hiprandStatePhilox4_32_10E0_ZNS1_27distribution_nullary_kernelIdd15HIP_vector_typeIfLj4EES7_SJ_SE_EEvSA_SG_RKT3_T4_EUlidE_EEvlNS_15PhiloxCudaStateESF_SG_,@function
_ZN2at6native12_GLOBAL__N_143distribution_elementwise_grid_stride_kernelIdLi2EZNS0_9templates4cuda20normal_and_transformIddPNS_17CUDAGeneratorImplEZZZNS4_17log_normal_kernelIS7_EEvRNS_18TensorIteratorBaseEddT_ENKUlvE_clEvENKUlvE_clEvEUldE_EEvSA_T1_T2_EUlP25hiprandStatePhilox4_32_10E0_ZNS1_27distribution_nullary_kernelIdd15HIP_vector_typeIfLj4EES7_SJ_SE_EEvSA_SG_RKT3_T4_EUlidE_EEvlNS_15PhiloxCudaStateESF_SG_: ; @_ZN2at6native12_GLOBAL__N_143distribution_elementwise_grid_stride_kernelIdLi2EZNS0_9templates4cuda20normal_and_transformIddPNS_17CUDAGeneratorImplEZZZNS4_17log_normal_kernelIS7_EEvRNS_18TensorIteratorBaseEddT_ENKUlvE_clEvENKUlvE_clEvEUldE_EEvSA_T1_T2_EUlP25hiprandStatePhilox4_32_10E0_ZNS1_27distribution_nullary_kernelIdd15HIP_vector_typeIfLj4EES7_SJ_SE_EEvSA_SG_RKT3_T4_EUlidE_EEvlNS_15PhiloxCudaStateESF_SG_
; %bb.0:
	s_load_dword s3, s[0:1], 0x20
	s_load_dwordx2 s[8:9], s[0:1], 0x10
	s_load_dwordx4 s[4:7], s[0:1], 0x0
	s_mov_b32 s13, 0
	s_waitcnt lgkmcnt(0)
	s_bitcmp0_b32 s3, 0
	v_mov_b64_e32 v[2:3], s[8:9]
	v_mov_b64_e32 v[8:9], s[6:7]
	s_cbranch_scc1 .LBB2_2
; %bb.1:
	v_mov_b64_e32 v[4:5], s[8:9]
	v_mov_b64_e32 v[2:3], s[6:7]
	flat_load_dwordx2 v[6:7], v[4:5]
	flat_load_dwordx2 v[8:9], v[2:3]
	s_load_dwordx2 s[6:7], s[0:1], 0x18
	s_waitcnt vmcnt(0) lgkmcnt(0)
	v_lshl_add_u64 v[2:3], v[6:7], 0, s[6:7]
.LBB2_2:
	s_load_dword s3, s[0:1], 0x5c
	s_load_dword s18, s[0:1], 0x50
	s_mov_b32 s10, s13
	s_mov_b64 s[8:9], -1
	s_waitcnt lgkmcnt(0)
	s_and_b32 s3, s3, 0xffff
	s_add_u32 s7, s4, -1
	s_mul_i32 s6, s18, s3
	s_addc_u32 s11, s5, -1
	s_lshl_b32 s12, s6, 1
	s_cmp_lg_u64 s[10:11], 0
	s_cbranch_scc0 .LBB2_23
; %bb.3:
	v_cvt_f32_u32_e32 v1, s12
	v_cvt_f32_ubyte0_e32 v4, 0
	s_sub_u32 s10, 0, s12
	s_subb_u32 s14, 0, 0
	v_fmamk_f32 v1, v4, 0x4f800000, v1
	v_rcp_f32_e32 v1, v1
	s_nop 0
	v_mul_f32_e32 v1, 0x5f7ffffc, v1
	v_mul_f32_e32 v4, 0x2f800000, v1
	v_trunc_f32_e32 v4, v4
	v_fmamk_f32 v1, v4, 0xcf800000, v1
	v_cvt_u32_f32_e32 v4, v4
	v_cvt_u32_f32_e32 v1, v1
	v_readfirstlane_b32 s15, v4
	v_readfirstlane_b32 s16, v1
	s_mul_i32 s17, s10, s15
	s_mul_hi_u32 s20, s10, s16
	s_mul_i32 s19, s14, s16
	s_add_i32 s17, s20, s17
	s_add_i32 s17, s17, s19
	s_mul_i32 s21, s10, s16
	s_mul_hi_u32 s19, s16, s17
	s_mul_i32 s20, s16, s17
	s_mul_hi_u32 s16, s16, s21
	s_add_u32 s16, s16, s20
	s_addc_u32 s19, 0, s19
	s_mul_hi_u32 s22, s15, s21
	s_mul_i32 s21, s15, s21
	s_add_u32 s16, s16, s21
	s_mul_hi_u32 s20, s15, s17
	s_addc_u32 s16, s19, s22
	s_addc_u32 s19, s20, 0
	s_mul_i32 s17, s15, s17
	s_add_u32 s16, s16, s17
	s_addc_u32 s17, 0, s19
	v_add_co_u32_e32 v1, vcc, s16, v1
	s_cmp_lg_u64 vcc, 0
	s_addc_u32 s15, s15, s17
	v_readfirstlane_b32 s17, v1
	s_mul_i32 s16, s10, s15
	s_mul_hi_u32 s19, s10, s17
	s_add_i32 s16, s19, s16
	s_mul_i32 s14, s14, s17
	s_add_i32 s16, s16, s14
	s_mul_i32 s10, s10, s17
	s_mul_hi_u32 s19, s15, s10
	s_mul_i32 s20, s15, s10
	s_mul_i32 s22, s17, s16
	s_mul_hi_u32 s10, s17, s10
	s_mul_hi_u32 s21, s17, s16
	s_add_u32 s10, s10, s22
	s_addc_u32 s17, 0, s21
	s_add_u32 s10, s10, s20
	s_mul_hi_u32 s14, s15, s16
	s_addc_u32 s10, s17, s19
	s_addc_u32 s14, s14, 0
	s_mul_i32 s16, s15, s16
	s_add_u32 s10, s10, s16
	s_addc_u32 s14, 0, s14
	v_add_co_u32_e32 v1, vcc, s10, v1
	s_cmp_lg_u64 vcc, 0
	s_addc_u32 s16, s15, s14
	s_ashr_i32 s14, s11, 31
	s_add_u32 s10, s7, s14
	s_mov_b32 s15, s14
	s_addc_u32 s11, s11, s14
	s_xor_b64 s[10:11], s[10:11], s[14:15]
	v_readfirstlane_b32 s20, v1
	s_mul_i32 s19, s10, s16
	s_mul_hi_u32 s21, s10, s20
	s_mul_hi_u32 s17, s10, s16
	s_add_u32 s19, s21, s19
	s_addc_u32 s17, 0, s17
	s_mul_hi_u32 s22, s11, s20
	s_mul_i32 s20, s11, s20
	s_add_u32 s19, s19, s20
	s_mul_hi_u32 s21, s11, s16
	s_addc_u32 s17, s17, s22
	s_addc_u32 s19, s21, 0
	s_mul_i32 s16, s11, s16
	s_add_u32 s16, s17, s16
	s_addc_u32 s17, 0, s19
	s_add_u32 s19, s16, 1
	s_addc_u32 s20, s17, 0
	s_add_u32 s21, s16, 2
	s_mul_i32 s23, s12, s17
	s_mul_hi_u32 s24, s12, s16
	s_addc_u32 s22, s17, 0
	s_add_i32 s24, s24, s23
	s_mul_i32 s23, s12, s16
	v_mov_b32_e32 v1, s23
	v_sub_co_u32_e32 v1, vcc, s10, v1
	s_cmp_lg_u64 vcc, 0
	s_subb_u32 s10, s11, s24
	v_subrev_co_u32_e32 v4, vcc, s12, v1
	s_cmp_lg_u64 vcc, 0
	s_subb_u32 s11, s10, 0
	v_readfirstlane_b32 s23, v4
	s_cmp_ge_u32 s23, s12
	s_cselect_b32 s23, -1, 0
	s_cmp_eq_u32 s11, 0
	s_cselect_b32 s11, s23, -1
	s_cmp_lg_u32 s11, 0
	s_cselect_b32 s11, s22, s20
	v_readfirstlane_b32 s20, v1
	s_cselect_b32 s19, s21, s19
	s_cmp_ge_u32 s20, s12
	s_cselect_b32 s20, -1, 0
	s_cmp_eq_u32 s10, 0
	s_cselect_b32 s10, s20, -1
	s_cmp_lg_u32 s10, 0
	s_cselect_b32 s11, s11, s17
	s_cselect_b32 s10, s19, s16
	s_xor_b64 s[10:11], s[10:11], s[14:15]
	s_sub_u32 s10, s10, s14
	s_subb_u32 s11, s11, s14
	s_cbranch_execnz .LBB2_5
.LBB2_4:
	v_cvt_f32_u32_e32 v1, s12
	s_sub_i32 s8, 0, s12
	s_mov_b32 s11, 0
	v_rcp_iflag_f32_e32 v1, v1
	s_nop 0
	v_mul_f32_e32 v1, 0x4f7ffffe, v1
	v_cvt_u32_f32_e32 v1, v1
	s_nop 0
	v_readfirstlane_b32 s9, v1
	s_mul_i32 s8, s8, s9
	s_mul_hi_u32 s8, s9, s8
	s_add_i32 s9, s9, s8
	s_mul_hi_u32 s8, s7, s9
	s_mul_i32 s10, s8, s12
	s_sub_i32 s7, s7, s10
	s_add_i32 s9, s8, 1
	s_sub_i32 s10, s7, s12
	s_cmp_ge_u32 s7, s12
	s_cselect_b32 s8, s9, s8
	s_cselect_b32 s7, s10, s7
	s_add_i32 s9, s8, 1
	s_cmp_ge_u32 s7, s12
	s_cselect_b32 s10, s9, s8
.LBB2_5:
	v_mov_b32_e32 v1, 0
	v_mov_b32_e32 v4, s2
	v_mad_u64_u32 v[10:11], s[8:9], s3, v4, v[0:1]
	s_add_u32 s7, s10, 1
	s_addc_u32 s8, s11, 0
	s_mul_hi_u32 s9, s18, s3
	s_mul_i32 s8, s6, s8
	s_mul_hi_u32 s10, s6, s7
	s_add_i32 s8, s10, s8
	s_mul_i32 s9, s9, s7
	s_add_i32 s9, s8, s9
	s_mul_i32 s8, s6, s7
	s_lshl_b64 s[14:15], s[8:9], 1
	v_cmp_gt_i64_e32 vcc, s[14:15], v[10:11]
	s_and_saveexec_b64 s[8:9], vcc
	s_cbranch_execz .LBB2_22
; %bb.6:
	s_load_dwordx2 s[16:17], s[0:1], 0x30
	s_load_dword s19, s[0:1], 0x38
	s_load_dwordx4 s[8:11], s[0:1], 0x40
	v_mov_b32_e32 v4, v9
	v_mov_b32_e32 v5, v1
	s_mov_b64 s[0:1], 0xdb3d7428
	v_lshl_add_u64 v[12:13], v[4:5], 0, s[0:1]
	s_mov_b64 s[0:1], 0x5384540f
	v_lshl_add_u64 v[14:15], v[8:9], 0, s[0:1]
	;; [unrolled: 2-line block ×7, first 2 shown]
	s_mov_b64 s[0:1], 0x9e3779b9
	v_alignbit_b32 v13, v3, v2, 2
	s_mov_b32 s33, 0xd2511f53
	v_lshl_add_u64 v[26:27], v[8:9], 0, s[0:1]
	v_mad_u64_u32 v[6:7], s[0:1], v13, s33, 0
	v_xor_b32_e32 v1, v7, v9
	v_xor_b32_e32 v1, v1, v11
	s_mov_b32 s34, 0xcd9e8d57
	v_mad_u64_u32 v[32:33], s[0:1], v1, s34, 0
	v_xor_b32_e32 v1, v26, v33
	v_mad_u64_u32 v[28:29], s[0:1], v10, s34, 0
	v_and_b32_e32 v64, 3, v2
	v_xor_b32_e32 v1, v1, v28
	v_xor_b32_e32 v2, v8, v29
	v_lshrrev_b32_e32 v15, 2, v3
	v_mad_u64_u32 v[34:35], s[0:1], v1, s33, 0
	v_xor_b32_e32 v2, v2, v15
	v_xor_b32_e32 v1, v24, v35
	v_mad_u64_u32 v[2:3], s[0:1], v2, s33, 0
	v_xor_b32_e32 v1, v1, v2
	v_mad_u64_u32 v[36:37], s[0:1], v1, s34, 0
	s_mov_b64 s[0:1], 0xbb67ae85
	s_nop 0
	v_lshl_add_u64 v[28:29], v[4:5], 0, s[0:1]
	v_xor_b32_e32 v2, v28, v3
	v_xor_b32_e32 v2, v2, v6
	v_xor_b32_e32 v1, v22, v37
	v_mad_u64_u32 v[2:3], s[0:1], v2, s34, 0
	v_xor_b32_e32 v1, v1, v2
	v_mad_u64_u32 v[6:7], s[0:1], v1, s33, 0
	s_mov_b64 s[0:1], 0x3c6ef372
	s_nop 0
	v_lshl_add_u64 v[30:31], v[8:9], 0, s[0:1]
	v_xor_b32_e32 v2, v30, v3
	v_xor_b32_e32 v2, v2, v32
	v_xor_b32_e32 v1, v20, v7
	v_mad_u64_u32 v[2:3], s[0:1], v2, s33, 0
	v_xor_b32_e32 v1, v1, v2
	v_mad_u64_u32 v[40:41], s[0:1], v1, s34, 0
	s_mov_b64 s[0:1], 0x32370b8f
	s_nop 0
	v_lshl_add_u64 v[32:33], v[4:5], 0, s[0:1]
	v_xor_b32_e32 v2, v32, v3
	v_xor_b32_e32 v2, v2, v34
	v_xor_b32_e32 v1, v18, v41
	v_mad_u64_u32 v[2:3], s[0:1], v2, s34, 0
	v_xor_b32_e32 v1, v1, v2
	v_mad_u64_u32 v[42:43], s[0:1], v1, s33, 0
	s_mov_b64 s[0:1], 0x78dde6e4
	s_nop 0
	v_lshl_add_u64 v[34:35], v[8:9], 0, s[0:1]
	v_xor_b32_e32 v2, v34, v3
	v_xor_b32_e32 v2, v2, v36
	v_xor_b32_e32 v1, v16, v43
	v_mad_u64_u32 v[2:3], s[0:1], v2, s33, 0
	v_xor_b32_e32 v1, v1, v2
	v_mad_u64_u32 v[44:45], s[0:1], v1, s34, 0
	s_mov_b64 s[0:1], 0xa9066899
	s_nop 0
	v_lshl_add_u64 v[36:37], v[4:5], 0, s[0:1]
	v_xor_b32_e32 v2, v36, v3
	v_xor_b32_e32 v2, v2, v6
	v_xor_b32_e32 v1, v14, v45
	v_mad_u64_u32 v[2:3], s[0:1], v2, s34, 0
	v_xor_b32_e32 v1, v1, v2
	v_mad_u64_u32 v[6:7], s[0:1], v1, s33, 0
	s_mov_b64 s[0:1], 0xb54cda56
	s_nop 0
	v_lshl_add_u64 v[38:39], v[8:9], 0, s[0:1]
	v_xor_b32_e32 v2, v38, v3
	v_xor_b32_e32 v2, v2, v40
	v_xor_b32_e32 v1, v12, v7
	v_mad_u64_u32 v[2:3], s[0:1], v2, s33, 0
	v_xor_b32_e32 v1, v1, v2
	v_mad_u64_u32 v[46:47], s[0:1], v1, s34, 0
	s_mov_b64 s[0:1], 0x1fd5c5a3
	s_nop 0
	v_lshl_add_u64 v[40:41], v[4:5], 0, s[0:1]
	v_xor_b32_e32 v1, v40, v3
	v_xor_b32_e32 v1, v1, v42
	v_mad_u64_u32 v[2:3], s[0:1], v1, s34, 0
	s_mov_b64 s[0:1], 0xf1bbcdc8
	v_add_u32_e32 v65, 0x8ff34781, v8
	v_xor_b32_e32 v1, v47, v2
	v_lshl_add_u64 v[42:43], v[8:9], 0, s[0:1]
	v_xor_b32_e32 v4, v65, v1
	v_xor_b32_e32 v1, v42, v3
	;; [unrolled: 1-line block ×3, first 2 shown]
	v_mad_u64_u32 v[2:3], s[0:1], v1, s33, 0
	v_add_u32_e32 v66, 0x96a522ad, v9
	v_xor_b32_e32 v1, v3, v6
	s_mul_i32 s0, s2, s3
	v_xor_b32_e32 v6, v66, v1
	v_add_u32_e32 v1, s0, v0
	s_waitcnt lgkmcnt(0)
	s_mul_i32 s0, s18, s19
	s_mul_i32 s0, s0, s3
	s_lshl_b32 s35, s0, 1
	s_add_i32 s0, s2, s18
	s_mul_i32 s0, s0, s3
	v_add_u32_e32 v0, s0, v0
	s_mov_b32 s7, 0
	v_mul_lo_u32 v17, s19, v1
	v_mul_lo_u32 v19, s19, v0
	s_mov_b32 s18, 0x652b82fe
	s_mov_b32 s20, 0xfefa39ef
	;; [unrolled: 1-line block ×6, first 2 shown]
	v_mov_b32_e32 v5, v46
	v_mov_b32_e32 v7, v2
	s_mov_b64 s[2:3], 0
	s_mov_b32 s36, 0x800000
	s_mov_b32 s37, 0x3f317217
	;; [unrolled: 1-line block ×10, first 2 shown]
	v_mov_b32_e32 v44, 0xfca7ab0c
	v_mov_b32_e32 v45, 0x3e928af3
	;; [unrolled: 1-line block ×18, first 2 shown]
	s_mov_b32 s40, s7
	v_mov_b32_e32 v21, 0x2f800000
	v_mov_b32_e32 v23, 0x30c90fdb
	;; [unrolled: 1-line block ×8, first 2 shown]
	s_branch .LBB2_8
.LBB2_7:                                ;   in Loop: Header=BB2_8 Depth=1
	s_or_b64 exec, exec, s[30:31]
	v_mov_b32_e32 v3, v62
	v_lshl_add_u64 v[10:11], v[10:11], 0, s[12:13]
	s_add_i32 s40, s40, s35
	v_cmp_le_i64_e32 vcc, s[14:15], v[10:11]
	v_mov_b64_e32 v[6:7], v[2:3]
	s_or_b64 s[2:3], vcc, s[2:3]
	v_mov_b64_e32 v[4:5], v[0:1]
	s_barrier
	s_andn2_b64 exec, exec, s[2:3]
	s_cbranch_execz .LBB2_22
.LBB2_8:                                ; =>This Inner Loop Header: Depth=1
	v_add_co_u32_e32 v13, vcc, 1, v13
	s_nop 1
	v_cndmask_b32_e64 v0, 0, 1, vcc
	v_addc_co_u32_e32 v15, vcc, 0, v15, vcc
	v_cmp_eq_u32_e32 vcc, 0, v15
	s_nop 1
	v_cndmask_b32_e32 v0, 0, v0, vcc
	v_add_u32_e32 v33, v0, v33
	v_cmp_eq_u32_e32 vcc, 0, v33
	v_mad_u64_u32 v[2:3], s[0:1], v33, s34, 0
	s_nop 0
	v_cndmask_b32_e32 v0, 0, v0, vcc
	v_add_u32_e32 v35, v0, v35
	v_mad_u64_u32 v[0:1], s[0:1], v13, s33, 0
	v_xor_b32_e32 v1, v1, v9
	v_xor_b32_e32 v3, v3, v8
	v_xor_b32_e32 v1, v35, v1
	v_xor_b32_e32 v3, v15, v3
	v_mad_u64_u32 v[68:69], s[0:1], v1, s34, 0
	v_mad_u64_u32 v[62:63], s[0:1], v3, s33, 0
	v_xor_b32_e32 v1, v26, v69
	v_xor_b32_e32 v1, v1, v2
	v_xor_b32_e32 v2, v28, v63
	v_xor_b32_e32 v2, v2, v0
	v_mad_u64_u32 v[0:1], s[0:1], v1, s33, 0
	;; [unrolled: 6-line block ×9, first 2 shown]
	v_mad_u64_u32 v[68:69], s[0:1], v3, s34, 0
	v_xor_b32_e32 v0, v69, v0
	v_xor_b32_e32 v1, v63, v2
	v_xor_b32_e32 v0, v65, v0
	v_xor_b32_e32 v2, v66, v1
	v_mov_b32_e32 v1, v68
	v_cmp_lt_i32_e32 vcc, 1, v64
	s_and_saveexec_b64 s[0:1], vcc
	s_xor_b64 s[0:1], exec, s[0:1]
	s_cbranch_execz .LBB2_14
; %bb.9:                                ;   in Loop: Header=BB2_8 Depth=1
	v_cmp_lt_i32_e32 vcc, 2, v64
	s_and_saveexec_b64 s[30:31], vcc
	s_xor_b64 s[30:31], exec, s[30:31]
; %bb.10:                               ;   in Loop: Header=BB2_8 Depth=1
	v_mov_b32_e32 v4, v7
	v_mov_b32_e32 v5, v0
; %bb.11:                               ;   in Loop: Header=BB2_8 Depth=1
	s_andn2_saveexec_b64 s[30:31], s[30:31]
; %bb.12:                               ;   in Loop: Header=BB2_8 Depth=1
	v_mov_b32_e32 v4, v6
	v_mov_b32_e32 v5, v7
; %bb.13:                               ;   in Loop: Header=BB2_8 Depth=1
	s_or_b64 exec, exec, s[30:31]
.LBB2_14:                               ;   in Loop: Header=BB2_8 Depth=1
	s_andn2_saveexec_b64 s[0:1], s[0:1]
	s_cbranch_execz .LBB2_18
; %bb.15:                               ;   in Loop: Header=BB2_8 Depth=1
	v_cmp_eq_u32_e32 vcc, 1, v64
	s_and_saveexec_b64 s[30:31], vcc
; %bb.16:                               ;   in Loop: Header=BB2_8 Depth=1
	v_mov_b32_e32 v4, v5
	v_mov_b32_e32 v5, v6
; %bb.17:                               ;   in Loop: Header=BB2_8 Depth=1
	s_or_b64 exec, exec, s[30:31]
.LBB2_18:                               ;   in Loop: Header=BB2_8 Depth=1
	s_or_b64 exec, exec, s[0:1]
	v_cvt_f32_u32_e32 v3, v4
	v_fmamk_f32 v3, v3, 0x2f800000, v21
	v_cmp_gt_f32_e32 vcc, s36, v3
	s_nop 1
	v_cndmask_b32_e32 v4, 1.0, v27, vcc
	v_mul_f32_e32 v3, v3, v4
	v_log_f32_e32 v3, v3
	v_cvt_f32_u32_e32 v4, v5
	v_cndmask_b32_e32 v5, 0, v29, vcc
	v_mul_f32_e32 v6, 0x3f317217, v3
	v_fma_f32 v7, v3, s37, -v6
	v_fmac_f32_e32 v7, 0x3377d1cf, v3
	v_add_f32_e32 v6, v6, v7
	v_cmp_lt_f32_e64 vcc, |v3|, s38
	v_fmamk_f32 v4, v4, 0x30c90fdb, v23
	v_mul_f32_e32 v4, 0.15915494, v4
	v_cndmask_b32_e32 v3, v3, v6, vcc
	v_sub_f32_e32 v3, v3, v5
	v_mul_f32_e32 v3, -2.0, v3
	v_mul_f32_e32 v5, 0x4f800000, v3
	v_cmp_gt_f32_e32 vcc, s39, v3
	s_nop 1
	v_cndmask_b32_e32 v3, v3, v5, vcc
	v_sqrt_f32_e32 v5, v3
	s_nop 0
	v_add_u32_e32 v6, -1, v5
	v_add_u32_e32 v7, 1, v5
	v_fma_f32 v37, -v6, v5, v3
	v_fma_f32 v39, -v7, v5, v3
	v_cmp_ge_f32_e64 s[0:1], 0, v37
	s_nop 1
	v_cndmask_b32_e64 v5, v5, v6, s[0:1]
	v_cmp_lt_f32_e64 s[0:1], 0, v39
	s_nop 1
	v_cndmask_b32_e64 v5, v5, v7, s[0:1]
	v_mul_f32_e32 v6, 0x37800000, v5
	v_cndmask_b32_e32 v5, v5, v6, vcc
	v_cmp_class_f32_e32 vcc, v3, v25
	s_nop 1
	v_cndmask_b32_e32 v3, v5, v3, vcc
	v_cmp_gt_i64_e32 vcc, s[4:5], v[10:11]
	s_and_saveexec_b64 s[30:31], vcc
	s_cbranch_execz .LBB2_20
; %bb.19:                               ;   in Loop: Header=BB2_8 Depth=1
	v_sin_f32_e32 v5, v4
	v_mov_b64_e32 v[70:71], s[8:9]
	v_mov_b64_e32 v[74:75], v[44:45]
	;; [unrolled: 1-line block ×3, first 2 shown]
	v_mul_f32_e32 v5, v5, v3
	v_cvt_f64_f32_e32 v[68:69], v5
	v_fma_f64 v[68:69], s[10:11], v[68:69], v[70:71]
	v_mul_f64 v[70:71], v[68:69], s[18:19]
	v_rndne_f64_e32 v[70:71], v[70:71]
	v_fma_f64 v[72:73], s[20:21], v[70:71], v[68:69]
	v_fmac_f64_e32 v[72:73], s[22:23], v[70:71]
	v_fmac_f64_e32 v[74:75], s[24:25], v[72:73]
	v_fmac_f64_e32 v[76:77], v[72:73], v[74:75]
	v_mov_b64_e32 v[74:75], v[48:49]
	v_fmac_f64_e32 v[74:75], v[72:73], v[76:77]
	v_mov_b64_e32 v[76:77], v[50:51]
	v_fmac_f64_e32 v[76:77], v[72:73], v[74:75]
	;; [unrolled: 2-line block ×7, first 2 shown]
	v_fma_f64 v[74:75], v[72:73], v[74:75], 1.0
	v_fma_f64 v[72:73], v[72:73], v[74:75], 1.0
	v_cvt_i32_f64_e32 v5, v[70:71]
	v_add_u32_e32 v6, s40, v17
	v_ldexp_f64 v[70:71], v[72:73], v5
	v_cmp_nlt_f64_e32 vcc, s[26:27], v[68:69]
	v_cmp_ngt_f64_e64 s[0:1], s[28:29], v[68:69]
	v_ashrrev_i32_e32 v7, 31, v6
	v_cndmask_b32_e32 v5, v31, v71, vcc
	s_and_b64 vcc, s[0:1], vcc
	v_lshl_add_u64 v[6:7], s[16:17], 0, v[6:7]
	v_cndmask_b32_e64 v69, 0, v5, s[0:1]
	v_cndmask_b32_e32 v68, 0, v70, vcc
	global_store_dwordx2 v[6:7], v[68:69], off
.LBB2_20:                               ;   in Loop: Header=BB2_8 Depth=1
	s_or_b64 exec, exec, s[30:31]
	v_lshl_add_u64 v[6:7], s[6:7], 0, v[10:11]
	v_cmp_gt_i64_e32 vcc, s[4:5], v[6:7]
	s_and_saveexec_b64 s[30:31], vcc
	s_cbranch_execz .LBB2_7
; %bb.21:                               ;   in Loop: Header=BB2_8 Depth=1
	v_cos_f32_e32 v6, v4
	v_mov_b64_e32 v[68:69], s[8:9]
	v_mov_b64_e32 v[72:73], v[44:45]
	v_mov_b64_e32 v[74:75], v[46:47]
	v_mul_f32_e32 v3, v6, v3
	v_cvt_f64_f32_e32 v[6:7], v3
	v_fma_f64 v[6:7], s[10:11], v[6:7], v[68:69]
	v_mul_f64 v[68:69], v[6:7], s[18:19]
	v_rndne_f64_e32 v[68:69], v[68:69]
	v_fma_f64 v[70:71], s[20:21], v[68:69], v[6:7]
	v_fmac_f64_e32 v[70:71], s[22:23], v[68:69]
	v_fmac_f64_e32 v[72:73], s[24:25], v[70:71]
	;; [unrolled: 1-line block ×3, first 2 shown]
	v_mov_b64_e32 v[72:73], v[48:49]
	v_fmac_f64_e32 v[72:73], v[70:71], v[74:75]
	v_mov_b64_e32 v[74:75], v[50:51]
	v_fmac_f64_e32 v[74:75], v[70:71], v[72:73]
	v_mov_b64_e32 v[72:73], v[52:53]
	v_fmac_f64_e32 v[72:73], v[70:71], v[74:75]
	v_mov_b64_e32 v[74:75], v[54:55]
	v_fmac_f64_e32 v[74:75], v[70:71], v[72:73]
	v_mov_b64_e32 v[72:73], v[56:57]
	v_fmac_f64_e32 v[72:73], v[70:71], v[74:75]
	v_mov_b64_e32 v[74:75], v[58:59]
	v_fmac_f64_e32 v[74:75], v[70:71], v[72:73]
	v_mov_b64_e32 v[72:73], v[60:61]
	v_fmac_f64_e32 v[72:73], v[70:71], v[74:75]
	v_fma_f64 v[72:73], v[70:71], v[72:73], 1.0
	v_fma_f64 v[70:71], v[70:71], v[72:73], 1.0
	v_cvt_i32_f64_e32 v3, v[68:69]
	v_add_u32_e32 v4, s40, v19
	v_ldexp_f64 v[68:69], v[70:71], v3
	v_cmp_nlt_f64_e32 vcc, s[26:27], v[6:7]
	v_cmp_ngt_f64_e64 s[0:1], s[28:29], v[6:7]
	v_ashrrev_i32_e32 v5, 31, v4
	v_cndmask_b32_e32 v3, v31, v69, vcc
	s_and_b64 vcc, s[0:1], vcc
	v_lshl_add_u64 v[4:5], s[16:17], 0, v[4:5]
	v_cndmask_b32_e64 v7, 0, v3, s[0:1]
	v_cndmask_b32_e32 v6, 0, v68, vcc
	global_store_dwordx2 v[4:5], v[6:7], off
	s_branch .LBB2_7
.LBB2_22:
	s_endpgm
.LBB2_23:
                                        ; implicit-def: $sgpr10_sgpr11
	s_andn2_b64 vcc, exec, s[8:9]
	s_cbranch_vccz .LBB2_4
	s_branch .LBB2_5
	.section	.rodata,"a",@progbits
	.p2align	6, 0x0
	.amdhsa_kernel _ZN2at6native12_GLOBAL__N_143distribution_elementwise_grid_stride_kernelIdLi2EZNS0_9templates4cuda20normal_and_transformIddPNS_17CUDAGeneratorImplEZZZNS4_17log_normal_kernelIS7_EEvRNS_18TensorIteratorBaseEddT_ENKUlvE_clEvENKUlvE_clEvEUldE_EEvSA_T1_T2_EUlP25hiprandStatePhilox4_32_10E0_ZNS1_27distribution_nullary_kernelIdd15HIP_vector_typeIfLj4EES7_SJ_SE_EEvSA_SG_RKT3_T4_EUlidE_EEvlNS_15PhiloxCudaStateESF_SG_
		.amdhsa_group_segment_fixed_size 0
		.amdhsa_private_segment_fixed_size 0
		.amdhsa_kernarg_size 336
		.amdhsa_user_sgpr_count 2
		.amdhsa_user_sgpr_dispatch_ptr 0
		.amdhsa_user_sgpr_queue_ptr 0
		.amdhsa_user_sgpr_kernarg_segment_ptr 1
		.amdhsa_user_sgpr_dispatch_id 0
		.amdhsa_user_sgpr_kernarg_preload_length 0
		.amdhsa_user_sgpr_kernarg_preload_offset 0
		.amdhsa_user_sgpr_private_segment_size 0
		.amdhsa_uses_dynamic_stack 0
		.amdhsa_enable_private_segment 0
		.amdhsa_system_sgpr_workgroup_id_x 1
		.amdhsa_system_sgpr_workgroup_id_y 0
		.amdhsa_system_sgpr_workgroup_id_z 0
		.amdhsa_system_sgpr_workgroup_info 0
		.amdhsa_system_vgpr_workitem_id 0
		.amdhsa_next_free_vgpr 78
		.amdhsa_next_free_sgpr 41
		.amdhsa_accum_offset 80
		.amdhsa_reserve_vcc 1
		.amdhsa_float_round_mode_32 0
		.amdhsa_float_round_mode_16_64 0
		.amdhsa_float_denorm_mode_32 3
		.amdhsa_float_denorm_mode_16_64 3
		.amdhsa_dx10_clamp 1
		.amdhsa_ieee_mode 1
		.amdhsa_fp16_overflow 0
		.amdhsa_tg_split 0
		.amdhsa_exception_fp_ieee_invalid_op 0
		.amdhsa_exception_fp_denorm_src 0
		.amdhsa_exception_fp_ieee_div_zero 0
		.amdhsa_exception_fp_ieee_overflow 0
		.amdhsa_exception_fp_ieee_underflow 0
		.amdhsa_exception_fp_ieee_inexact 0
		.amdhsa_exception_int_div_zero 0
	.end_amdhsa_kernel
	.section	.text._ZN2at6native12_GLOBAL__N_143distribution_elementwise_grid_stride_kernelIdLi2EZNS0_9templates4cuda20normal_and_transformIddPNS_17CUDAGeneratorImplEZZZNS4_17log_normal_kernelIS7_EEvRNS_18TensorIteratorBaseEddT_ENKUlvE_clEvENKUlvE_clEvEUldE_EEvSA_T1_T2_EUlP25hiprandStatePhilox4_32_10E0_ZNS1_27distribution_nullary_kernelIdd15HIP_vector_typeIfLj4EES7_SJ_SE_EEvSA_SG_RKT3_T4_EUlidE_EEvlNS_15PhiloxCudaStateESF_SG_,"axG",@progbits,_ZN2at6native12_GLOBAL__N_143distribution_elementwise_grid_stride_kernelIdLi2EZNS0_9templates4cuda20normal_and_transformIddPNS_17CUDAGeneratorImplEZZZNS4_17log_normal_kernelIS7_EEvRNS_18TensorIteratorBaseEddT_ENKUlvE_clEvENKUlvE_clEvEUldE_EEvSA_T1_T2_EUlP25hiprandStatePhilox4_32_10E0_ZNS1_27distribution_nullary_kernelIdd15HIP_vector_typeIfLj4EES7_SJ_SE_EEvSA_SG_RKT3_T4_EUlidE_EEvlNS_15PhiloxCudaStateESF_SG_,comdat
.Lfunc_end2:
	.size	_ZN2at6native12_GLOBAL__N_143distribution_elementwise_grid_stride_kernelIdLi2EZNS0_9templates4cuda20normal_and_transformIddPNS_17CUDAGeneratorImplEZZZNS4_17log_normal_kernelIS7_EEvRNS_18TensorIteratorBaseEddT_ENKUlvE_clEvENKUlvE_clEvEUldE_EEvSA_T1_T2_EUlP25hiprandStatePhilox4_32_10E0_ZNS1_27distribution_nullary_kernelIdd15HIP_vector_typeIfLj4EES7_SJ_SE_EEvSA_SG_RKT3_T4_EUlidE_EEvlNS_15PhiloxCudaStateESF_SG_, .Lfunc_end2-_ZN2at6native12_GLOBAL__N_143distribution_elementwise_grid_stride_kernelIdLi2EZNS0_9templates4cuda20normal_and_transformIddPNS_17CUDAGeneratorImplEZZZNS4_17log_normal_kernelIS7_EEvRNS_18TensorIteratorBaseEddT_ENKUlvE_clEvENKUlvE_clEvEUldE_EEvSA_T1_T2_EUlP25hiprandStatePhilox4_32_10E0_ZNS1_27distribution_nullary_kernelIdd15HIP_vector_typeIfLj4EES7_SJ_SE_EEvSA_SG_RKT3_T4_EUlidE_EEvlNS_15PhiloxCudaStateESF_SG_
                                        ; -- End function
	.section	.AMDGPU.csdata,"",@progbits
; Kernel info:
; codeLenInByte = 3064
; NumSgprs: 47
; NumVgprs: 78
; NumAgprs: 0
; TotalNumVgprs: 78
; ScratchSize: 0
; MemoryBound: 0
; FloatMode: 240
; IeeeMode: 1
; LDSByteSize: 0 bytes/workgroup (compile time only)
; SGPRBlocks: 5
; VGPRBlocks: 9
; NumSGPRsForWavesPerEU: 47
; NumVGPRsForWavesPerEU: 78
; AccumOffset: 80
; Occupancy: 6
; WaveLimiterHint : 0
; COMPUTE_PGM_RSRC2:SCRATCH_EN: 0
; COMPUTE_PGM_RSRC2:USER_SGPR: 2
; COMPUTE_PGM_RSRC2:TRAP_HANDLER: 0
; COMPUTE_PGM_RSRC2:TGID_X_EN: 1
; COMPUTE_PGM_RSRC2:TGID_Y_EN: 0
; COMPUTE_PGM_RSRC2:TGID_Z_EN: 0
; COMPUTE_PGM_RSRC2:TIDIG_COMP_CNT: 0
; COMPUTE_PGM_RSRC3_GFX90A:ACCUM_OFFSET: 19
; COMPUTE_PGM_RSRC3_GFX90A:TG_SPLIT: 0
	.section	.text._ZN2at6native12_GLOBAL__N_143distribution_elementwise_grid_stride_kernelIdLi2EZNS0_9templates4cuda20normal_and_transformIddPNS_17CUDAGeneratorImplEZZZNS4_17log_normal_kernelIS7_EEvRNS_18TensorIteratorBaseEddT_ENKUlvE_clEvENKUlvE_clEvEUldE_EEvSA_T1_T2_EUlP25hiprandStatePhilox4_32_10E0_ZNS1_27distribution_nullary_kernelIdd15HIP_vector_typeIfLj4EES7_SJ_SE_EEvSA_SG_RKT3_T4_EUlidE0_EEvlNS_15PhiloxCudaStateESF_SG_,"axG",@progbits,_ZN2at6native12_GLOBAL__N_143distribution_elementwise_grid_stride_kernelIdLi2EZNS0_9templates4cuda20normal_and_transformIddPNS_17CUDAGeneratorImplEZZZNS4_17log_normal_kernelIS7_EEvRNS_18TensorIteratorBaseEddT_ENKUlvE_clEvENKUlvE_clEvEUldE_EEvSA_T1_T2_EUlP25hiprandStatePhilox4_32_10E0_ZNS1_27distribution_nullary_kernelIdd15HIP_vector_typeIfLj4EES7_SJ_SE_EEvSA_SG_RKT3_T4_EUlidE0_EEvlNS_15PhiloxCudaStateESF_SG_,comdat
	.globl	_ZN2at6native12_GLOBAL__N_143distribution_elementwise_grid_stride_kernelIdLi2EZNS0_9templates4cuda20normal_and_transformIddPNS_17CUDAGeneratorImplEZZZNS4_17log_normal_kernelIS7_EEvRNS_18TensorIteratorBaseEddT_ENKUlvE_clEvENKUlvE_clEvEUldE_EEvSA_T1_T2_EUlP25hiprandStatePhilox4_32_10E0_ZNS1_27distribution_nullary_kernelIdd15HIP_vector_typeIfLj4EES7_SJ_SE_EEvSA_SG_RKT3_T4_EUlidE0_EEvlNS_15PhiloxCudaStateESF_SG_ ; -- Begin function _ZN2at6native12_GLOBAL__N_143distribution_elementwise_grid_stride_kernelIdLi2EZNS0_9templates4cuda20normal_and_transformIddPNS_17CUDAGeneratorImplEZZZNS4_17log_normal_kernelIS7_EEvRNS_18TensorIteratorBaseEddT_ENKUlvE_clEvENKUlvE_clEvEUldE_EEvSA_T1_T2_EUlP25hiprandStatePhilox4_32_10E0_ZNS1_27distribution_nullary_kernelIdd15HIP_vector_typeIfLj4EES7_SJ_SE_EEvSA_SG_RKT3_T4_EUlidE0_EEvlNS_15PhiloxCudaStateESF_SG_
	.p2align	8
	.type	_ZN2at6native12_GLOBAL__N_143distribution_elementwise_grid_stride_kernelIdLi2EZNS0_9templates4cuda20normal_and_transformIddPNS_17CUDAGeneratorImplEZZZNS4_17log_normal_kernelIS7_EEvRNS_18TensorIteratorBaseEddT_ENKUlvE_clEvENKUlvE_clEvEUldE_EEvSA_T1_T2_EUlP25hiprandStatePhilox4_32_10E0_ZNS1_27distribution_nullary_kernelIdd15HIP_vector_typeIfLj4EES7_SJ_SE_EEvSA_SG_RKT3_T4_EUlidE0_EEvlNS_15PhiloxCudaStateESF_SG_,@function
_ZN2at6native12_GLOBAL__N_143distribution_elementwise_grid_stride_kernelIdLi2EZNS0_9templates4cuda20normal_and_transformIddPNS_17CUDAGeneratorImplEZZZNS4_17log_normal_kernelIS7_EEvRNS_18TensorIteratorBaseEddT_ENKUlvE_clEvENKUlvE_clEvEUldE_EEvSA_T1_T2_EUlP25hiprandStatePhilox4_32_10E0_ZNS1_27distribution_nullary_kernelIdd15HIP_vector_typeIfLj4EES7_SJ_SE_EEvSA_SG_RKT3_T4_EUlidE0_EEvlNS_15PhiloxCudaStateESF_SG_: ; @_ZN2at6native12_GLOBAL__N_143distribution_elementwise_grid_stride_kernelIdLi2EZNS0_9templates4cuda20normal_and_transformIddPNS_17CUDAGeneratorImplEZZZNS4_17log_normal_kernelIS7_EEvRNS_18TensorIteratorBaseEddT_ENKUlvE_clEvENKUlvE_clEvEUldE_EEvSA_T1_T2_EUlP25hiprandStatePhilox4_32_10E0_ZNS1_27distribution_nullary_kernelIdd15HIP_vector_typeIfLj4EES7_SJ_SE_EEvSA_SG_RKT3_T4_EUlidE0_EEvlNS_15PhiloxCudaStateESF_SG_
; %bb.0:
	s_load_dword s3, s[0:1], 0x20
	s_load_dwordx2 s[4:5], s[0:1], 0x10
	s_load_dwordx4 s[20:23], s[0:1], 0x0
	s_mov_b32 s35, 0
	s_waitcnt lgkmcnt(0)
	s_bitcmp0_b32 s3, 0
	v_mov_b64_e32 v[2:3], s[4:5]
	v_mov_b64_e32 v[8:9], s[22:23]
	s_cbranch_scc1 .LBB3_2
; %bb.1:
	v_mov_b64_e32 v[4:5], s[4:5]
	v_mov_b64_e32 v[2:3], s[22:23]
	flat_load_dwordx2 v[6:7], v[4:5]
	flat_load_dwordx2 v[8:9], v[2:3]
	s_load_dwordx2 s[4:5], s[0:1], 0x18
	s_waitcnt vmcnt(0) lgkmcnt(0)
	v_lshl_add_u64 v[2:3], v[6:7], 0, s[4:5]
.LBB3_2:
	s_load_dword s4, s[0:1], 0x15c
	s_load_dword s3, s[0:1], 0x150
	s_mov_b32 s6, s35
	s_waitcnt lgkmcnt(0)
	s_and_b32 s8, s4, 0xffff
	s_add_u32 s9, s20, -1
	s_mul_i32 s22, s3, s8
	s_addc_u32 s7, s21, -1
	s_lshl_b32 s34, s22, 1
	s_cmp_lg_u64 s[6:7], 0
	s_mov_b64 s[4:5], -1
	s_cbranch_scc0 .LBB3_51
; %bb.3:
	v_cvt_f32_u32_e32 v1, s34
	v_cvt_f32_ubyte0_e32 v4, 0
	s_sub_u32 s6, 0, s34
	s_subb_u32 s10, 0, 0
	v_fmamk_f32 v1, v4, 0x4f800000, v1
	v_rcp_f32_e32 v1, v1
	s_nop 0
	v_mul_f32_e32 v1, 0x5f7ffffc, v1
	v_mul_f32_e32 v4, 0x2f800000, v1
	v_trunc_f32_e32 v4, v4
	v_fmamk_f32 v1, v4, 0xcf800000, v1
	v_cvt_u32_f32_e32 v4, v4
	v_cvt_u32_f32_e32 v1, v1
	v_readfirstlane_b32 s11, v4
	v_readfirstlane_b32 s12, v1
	s_mul_i32 s13, s6, s11
	s_mul_hi_u32 s15, s6, s12
	s_mul_i32 s14, s10, s12
	s_add_i32 s13, s15, s13
	s_add_i32 s13, s13, s14
	s_mul_i32 s16, s6, s12
	s_mul_hi_u32 s14, s12, s13
	s_mul_i32 s15, s12, s13
	s_mul_hi_u32 s12, s12, s16
	s_add_u32 s12, s12, s15
	s_addc_u32 s14, 0, s14
	s_mul_hi_u32 s17, s11, s16
	s_mul_i32 s16, s11, s16
	s_add_u32 s12, s12, s16
	s_mul_hi_u32 s15, s11, s13
	s_addc_u32 s12, s14, s17
	s_addc_u32 s14, s15, 0
	s_mul_i32 s13, s11, s13
	s_add_u32 s12, s12, s13
	s_addc_u32 s13, 0, s14
	v_add_co_u32_e32 v1, vcc, s12, v1
	s_cmp_lg_u64 vcc, 0
	s_addc_u32 s11, s11, s13
	v_readfirstlane_b32 s13, v1
	s_mul_i32 s12, s6, s11
	s_mul_hi_u32 s14, s6, s13
	s_add_i32 s12, s14, s12
	s_mul_i32 s10, s10, s13
	s_add_i32 s12, s12, s10
	s_mul_i32 s6, s6, s13
	s_mul_hi_u32 s14, s11, s6
	s_mul_i32 s15, s11, s6
	s_mul_i32 s17, s13, s12
	s_mul_hi_u32 s6, s13, s6
	s_mul_hi_u32 s16, s13, s12
	s_add_u32 s6, s6, s17
	s_addc_u32 s13, 0, s16
	s_add_u32 s6, s6, s15
	s_mul_hi_u32 s10, s11, s12
	s_addc_u32 s6, s13, s14
	s_addc_u32 s10, s10, 0
	s_mul_i32 s12, s11, s12
	s_add_u32 s6, s6, s12
	s_addc_u32 s10, 0, s10
	v_add_co_u32_e32 v1, vcc, s6, v1
	s_cmp_lg_u64 vcc, 0
	s_addc_u32 s12, s11, s10
	s_ashr_i32 s10, s7, 31
	s_add_u32 s6, s9, s10
	s_mov_b32 s11, s10
	s_addc_u32 s7, s7, s10
	s_xor_b64 s[6:7], s[6:7], s[10:11]
	v_readfirstlane_b32 s15, v1
	s_mul_i32 s14, s6, s12
	s_mul_hi_u32 s16, s6, s15
	s_mul_hi_u32 s13, s6, s12
	s_add_u32 s14, s16, s14
	s_addc_u32 s13, 0, s13
	s_mul_hi_u32 s17, s7, s15
	s_mul_i32 s15, s7, s15
	s_add_u32 s14, s14, s15
	s_mul_hi_u32 s16, s7, s12
	s_addc_u32 s13, s13, s17
	s_addc_u32 s14, s16, 0
	s_mul_i32 s12, s7, s12
	s_add_u32 s12, s13, s12
	s_addc_u32 s13, 0, s14
	s_add_u32 s14, s12, 1
	s_addc_u32 s15, s13, 0
	s_add_u32 s16, s12, 2
	s_mul_i32 s18, s34, s13
	s_mul_hi_u32 s19, s34, s12
	s_addc_u32 s17, s13, 0
	s_add_i32 s19, s19, s18
	s_mul_i32 s18, s34, s12
	v_mov_b32_e32 v1, s18
	v_sub_co_u32_e32 v1, vcc, s6, v1
	s_cmp_lg_u64 vcc, 0
	s_subb_u32 s6, s7, s19
	v_subrev_co_u32_e32 v4, vcc, s34, v1
	s_cmp_lg_u64 vcc, 0
	s_subb_u32 s7, s6, 0
	v_readfirstlane_b32 s18, v4
	s_cmp_ge_u32 s18, s34
	s_cselect_b32 s18, -1, 0
	s_cmp_eq_u32 s7, 0
	s_cselect_b32 s7, s18, -1
	s_cmp_lg_u32 s7, 0
	s_cselect_b32 s7, s17, s15
	v_readfirstlane_b32 s15, v1
	s_cselect_b32 s14, s16, s14
	s_cmp_ge_u32 s15, s34
	s_cselect_b32 s15, -1, 0
	s_cmp_eq_u32 s6, 0
	s_cselect_b32 s6, s15, -1
	s_cmp_lg_u32 s6, 0
	s_cselect_b32 s7, s7, s13
	s_cselect_b32 s6, s14, s12
	s_xor_b64 s[6:7], s[6:7], s[10:11]
	s_sub_u32 s6, s6, s10
	s_subb_u32 s7, s7, s10
	s_cbranch_execnz .LBB3_5
.LBB3_4:
	v_cvt_f32_u32_e32 v1, s34
	s_sub_i32 s4, 0, s34
	s_mov_b32 s7, 0
	v_rcp_iflag_f32_e32 v1, v1
	s_nop 0
	v_mul_f32_e32 v1, 0x4f7ffffe, v1
	v_cvt_u32_f32_e32 v1, v1
	s_nop 0
	v_readfirstlane_b32 s5, v1
	s_mul_i32 s4, s4, s5
	s_mul_hi_u32 s4, s5, s4
	s_add_i32 s5, s5, s4
	s_mul_hi_u32 s4, s9, s5
	s_mul_i32 s6, s4, s34
	s_sub_i32 s6, s9, s6
	s_add_i32 s5, s4, 1
	s_sub_i32 s9, s6, s34
	s_cmp_ge_u32 s6, s34
	s_cselect_b32 s4, s5, s4
	s_cselect_b32 s6, s9, s6
	s_add_i32 s5, s4, 1
	s_cmp_ge_u32 s6, s34
	s_cselect_b32 s6, s5, s4
.LBB3_5:
	v_mov_b32_e32 v1, 0
	v_mov_b32_e32 v4, s2
	v_mad_u64_u32 v[10:11], s[4:5], s8, v4, v[0:1]
	s_add_u32 s2, s6, 1
	s_addc_u32 s4, s7, 0
	s_mul_hi_u32 s3, s3, s8
	s_mul_i32 s4, s22, s4
	s_mul_hi_u32 s5, s22, s2
	s_add_i32 s4, s5, s4
	s_mul_i32 s3, s3, s2
	s_add_i32 s3, s4, s3
	s_mul_i32 s2, s22, s2
	s_lshl_b64 s[40:41], s[2:3], 1
	v_cmp_gt_i64_e32 vcc, s[40:41], v[10:11]
	s_and_saveexec_b64 s[2:3], vcc
	s_cbranch_execz .LBB3_50
; %bb.6:
	v_mov_b32_e32 v0, v9
	s_mov_b64 s[2:3], 0xdb3d7428
	v_lshl_add_u64 v[12:13], v[0:1], 0, s[2:3]
	s_mov_b64 s[2:3], 0x5384540f
	v_lshl_add_u64 v[14:15], v[8:9], 0, s[2:3]
	;; [unrolled: 2-line block ×7, first 2 shown]
	s_mov_b64 s[2:3], 0x9e3779b9
	v_alignbit_b32 v13, v3, v2, 2
	s_mov_b32 s33, 0xd2511f53
	v_lshl_add_u64 v[26:27], v[8:9], 0, s[2:3]
	v_mad_u64_u32 v[4:5], s[2:3], v13, s33, 0
	v_and_b32_e32 v64, 3, v2
	v_xor_b32_e32 v2, v5, v9
	v_xor_b32_e32 v2, v2, v11
	s_mov_b32 s78, 0xcd9e8d57
	v_mad_u64_u32 v[6:7], s[2:3], v2, s78, 0
	v_xor_b32_e32 v2, v26, v7
	v_mad_u64_u32 v[28:29], s[2:3], v10, s78, 0
	v_xor_b32_e32 v2, v2, v28
	;; [unrolled: 2-line block ×3, first 2 shown]
	v_lshrrev_b32_e32 v15, 2, v3
	v_xor_b32_e32 v2, v2, v15
	v_xor_b32_e32 v5, v24, v35
	v_mad_u64_u32 v[2:3], s[2:3], v2, s33, 0
	v_xor_b32_e32 v2, v5, v2
	v_mad_u64_u32 v[36:37], s[2:3], v2, s78, 0
	s_mov_b64 s[2:3], 0xbb67ae85
	s_nop 0
	v_lshl_add_u64 v[28:29], v[0:1], 0, s[2:3]
	v_xor_b32_e32 v2, v28, v3
	v_xor_b32_e32 v2, v2, v4
	v_xor_b32_e32 v5, v22, v37
	v_mad_u64_u32 v[2:3], s[2:3], v2, s78, 0
	v_xor_b32_e32 v2, v5, v2
	v_mad_u64_u32 v[4:5], s[2:3], v2, s33, 0
	s_mov_b64 s[2:3], 0x3c6ef372
	s_nop 0
	v_lshl_add_u64 v[30:31], v[8:9], 0, s[2:3]
	v_xor_b32_e32 v2, v30, v3
	;; [unrolled: 9-line block ×7, first 2 shown]
	v_xor_b32_e32 v0, v0, v42
	v_mad_u64_u32 v[0:1], s[2:3], v0, s78, 0
	s_mov_b64 s[2:3], 0xf1bbcdc8
	s_load_dwordx8 s[4:11], s[0:1], 0x30
	v_add_u32_e32 v65, 0x8ff34781, v8
	v_xor_b32_e32 v0, v49, v0
	v_lshl_add_u64 v[42:43], v[8:9], 0, s[2:3]
	v_xor_b32_e32 v4, v65, v0
	v_xor_b32_e32 v0, v42, v1
	;; [unrolled: 1-line block ×3, first 2 shown]
	s_add_u32 s42, s0, 48
	v_mad_u64_u32 v[0:1], s[2:3], v0, s33, 0
	s_addc_u32 s43, s1, 0
	s_waitcnt lgkmcnt(0)
	s_add_i32 s2, s4, -1
	s_cmp_gt_u32 s2, 1
	s_cselect_b64 s[44:45], -1, 0
	s_cmp_lg_u32 s4, 0
	s_cselect_b64 s[46:47], -1, 0
	s_add_u32 s48, s0, 0xf4
	s_addc_u32 s49, s1, 0
	s_min_u32 s3, s2, 15
	s_cmp_gt_u32 s4, 1
	s_cselect_b64 s[50:51], -1, 0
	s_load_dwordx2 s[52:53], s[0:1], 0x148
	s_load_dwordx2 s[54:55], s[0:1], 0xf4
	s_load_dwordx4 s[24:27], s[0:1], 0x138
	s_add_i32 s3, s3, 1
	s_mov_b32 s4, s9
	s_and_b32 s9, s3, 3
	s_cmp_lg_u32 s2, 2
	s_cselect_b64 s[56:57], -1, 0
	s_and_b32 s11, s3, 28
	v_add_u32_e32 v66, 0x96a522ad, v9
	v_xor_b32_e32 v1, v1, v46
	s_cmp_lg_u32 s9, 0
	s_mov_b32 s62, 0x652b82fe
	s_mov_b32 s64, 0xfefa39ef
	;; [unrolled: 1-line block ×7, first 2 shown]
	v_xor_b32_e32 v6, v66, v1
	v_mov_b32_e32 v5, v48
	v_mov_b32_e32 v7, v0
	s_mov_b64 s[58:59], 0
	s_cselect_b64 s[60:61], -1, 0
	s_mov_b32 s79, 0x800000
	s_mov_b32 s80, 0x3f317217
	;; [unrolled: 1-line block ×10, first 2 shown]
	v_mov_b32_e32 v44, 0xfca7ab0c
	v_mov_b32_e32 v45, 0x3e928af3
	;; [unrolled: 1-line block ×22, first 2 shown]
	s_branch .LBB3_9
.LBB3_7:                                ;   in Loop: Header=BB3_9 Depth=1
	v_mul_f32_e32 v5, 0.15915494, v25
	v_cos_f32_e32 v5, v5
	s_waitcnt lgkmcnt(0)
	v_mov_b64_e32 v[6:7], s[26:27]
	v_mov_b64_e32 v[68:69], v[44:45]
	;; [unrolled: 1-line block ×3, first 2 shown]
	v_mul_f32_e32 v3, v5, v3
	v_cvt_f64_f32_e32 v[72:73], v3
	v_fma_f64 v[6:7], s[52:53], v[72:73], v[6:7]
	v_mul_f64 v[72:73], v[6:7], s[62:63]
	v_rndne_f64_e32 v[72:73], v[72:73]
	v_fma_f64 v[74:75], s[64:65], v[72:73], v[6:7]
	v_fmac_f64_e32 v[74:75], s[66:67], v[72:73]
	v_fmac_f64_e32 v[68:69], s[68:69], v[74:75]
	;; [unrolled: 1-line block ×3, first 2 shown]
	v_mov_b64_e32 v[68:69], v[48:49]
	v_fmac_f64_e32 v[68:69], v[74:75], v[70:71]
	v_mov_b64_e32 v[70:71], v[50:51]
	v_fmac_f64_e32 v[70:71], v[74:75], v[68:69]
	;; [unrolled: 2-line block ×7, first 2 shown]
	v_fma_f64 v[68:69], v[74:75], v[68:69], 1.0
	v_fma_f64 v[68:69], v[74:75], v[68:69], 1.0
	v_cvt_i32_f64_e32 v3, v[72:73]
	v_ldexp_f64 v[68:69], v[68:69], v3
	v_cmp_nlt_f64_e32 vcc, s[70:71], v[6:7]
	v_cmp_ngt_f64_e64 s[0:1], s[72:73], v[6:7]
	s_nop 0
	v_cndmask_b32_e32 v3, v19, v69, vcc
	s_and_b64 vcc, s[0:1], vcc
	v_cndmask_b32_e64 v7, 0, v3, s[0:1]
	v_cndmask_b32_e32 v6, 0, v68, vcc
	global_store_dwordx2 v4, v[6:7], s[24:25]
.LBB3_8:                                ;   in Loop: Header=BB3_9 Depth=1
	s_or_b64 exec, exec, s[36:37]
	v_mov_b32_e32 v3, v62
	v_lshl_add_u64 v[10:11], v[10:11], 0, s[34:35]
	v_cmp_le_i64_e32 vcc, s[40:41], v[10:11]
	v_mov_b64_e32 v[6:7], v[2:3]
	s_or_b64 s[58:59], vcc, s[58:59]
	v_mov_b64_e32 v[4:5], v[0:1]
	s_waitcnt lgkmcnt(0)
	s_barrier
	s_andn2_b64 exec, exec, s[58:59]
	s_cbranch_execz .LBB3_50
.LBB3_9:                                ; =>This Loop Header: Depth=1
                                        ;     Child Loop BB3_24 Depth 2
                                        ;     Child Loop BB3_30 Depth 2
	;; [unrolled: 1-line block ×4, first 2 shown]
	v_add_co_u32_e32 v13, vcc, 1, v13
	s_nop 1
	v_cndmask_b32_e64 v0, 0, 1, vcc
	v_addc_co_u32_e32 v15, vcc, 0, v15, vcc
	v_cmp_eq_u32_e32 vcc, 0, v15
	s_nop 1
	v_cndmask_b32_e32 v0, 0, v0, vcc
	v_add_u32_e32 v21, v0, v21
	v_cmp_eq_u32_e32 vcc, 0, v21
	v_mad_u64_u32 v[2:3], s[0:1], v21, s78, 0
	s_nop 0
	v_cndmask_b32_e32 v0, 0, v0, vcc
	v_add_u32_e32 v23, v0, v23
	v_mad_u64_u32 v[0:1], s[0:1], v13, s33, 0
	v_xor_b32_e32 v1, v1, v9
	v_xor_b32_e32 v3, v3, v8
	v_xor_b32_e32 v1, v23, v1
	v_xor_b32_e32 v3, v15, v3
	v_mad_u64_u32 v[68:69], s[0:1], v1, s78, 0
	v_mad_u64_u32 v[62:63], s[0:1], v3, s33, 0
	v_xor_b32_e32 v1, v26, v69
	v_xor_b32_e32 v1, v1, v2
	v_xor_b32_e32 v2, v28, v63
	v_xor_b32_e32 v2, v2, v0
	v_mad_u64_u32 v[0:1], s[0:1], v1, s33, 0
	;; [unrolled: 6-line block ×9, first 2 shown]
	v_mad_u64_u32 v[68:69], s[0:1], v3, s78, 0
	v_xor_b32_e32 v0, v69, v0
	v_xor_b32_e32 v1, v63, v2
	;; [unrolled: 1-line block ×4, first 2 shown]
	v_mov_b32_e32 v1, v68
	v_cmp_lt_i32_e32 vcc, 1, v64
	s_and_saveexec_b64 s[0:1], vcc
	s_xor_b64 s[0:1], exec, s[0:1]
	s_cbranch_execz .LBB3_15
; %bb.10:                               ;   in Loop: Header=BB3_9 Depth=1
	v_cmp_lt_i32_e32 vcc, 2, v64
	s_and_saveexec_b64 s[2:3], vcc
	s_xor_b64 s[2:3], exec, s[2:3]
; %bb.11:                               ;   in Loop: Header=BB3_9 Depth=1
	v_mov_b32_e32 v4, v7
	v_mov_b32_e32 v5, v0
; %bb.12:                               ;   in Loop: Header=BB3_9 Depth=1
	s_andn2_saveexec_b64 s[2:3], s[2:3]
; %bb.13:                               ;   in Loop: Header=BB3_9 Depth=1
	v_mov_b32_e32 v4, v6
	v_mov_b32_e32 v5, v7
; %bb.14:                               ;   in Loop: Header=BB3_9 Depth=1
	s_or_b64 exec, exec, s[2:3]
.LBB3_15:                               ;   in Loop: Header=BB3_9 Depth=1
	s_andn2_saveexec_b64 s[0:1], s[0:1]
	s_cbranch_execz .LBB3_19
; %bb.16:                               ;   in Loop: Header=BB3_9 Depth=1
	v_cmp_eq_u32_e32 vcc, 1, v64
	s_and_saveexec_b64 s[2:3], vcc
; %bb.17:                               ;   in Loop: Header=BB3_9 Depth=1
	v_mov_b32_e32 v4, v5
	v_mov_b32_e32 v5, v6
; %bb.18:                               ;   in Loop: Header=BB3_9 Depth=1
	s_or_b64 exec, exec, s[2:3]
.LBB3_19:                               ;   in Loop: Header=BB3_9 Depth=1
	s_or_b64 exec, exec, s[0:1]
	v_cvt_f32_u32_e32 v3, v4
	v_mov_b32_e32 v4, 0x2f800000
	v_fmamk_f32 v3, v3, 0x2f800000, v4
	v_cmp_gt_f32_e32 vcc, s79, v3
	v_mov_b32_e32 v4, 0x4f800000
	s_nop 0
	v_cndmask_b32_e32 v4, 1.0, v4, vcc
	v_mul_f32_e32 v3, v3, v4
	v_log_f32_e32 v3, v3
	v_cvt_f32_u32_e32 v4, v5
	v_mov_b32_e32 v5, 0x41b17218
	v_cndmask_b32_e32 v5, 0, v5, vcc
	v_mul_f32_e32 v6, 0x3f317217, v3
	v_fma_f32 v7, v3, s80, -v6
	v_fmac_f32_e32 v7, 0x3377d1cf, v3
	v_add_f32_e32 v6, v6, v7
	v_cmp_lt_f32_e64 vcc, |v3|, s81
	s_nop 1
	v_cndmask_b32_e32 v3, v3, v6, vcc
	v_sub_f32_e32 v3, v3, v5
	v_mul_f32_e32 v3, -2.0, v3
	v_mul_f32_e32 v5, 0x4f800000, v3
	v_cmp_gt_f32_e32 vcc, s82, v3
	v_mov_b32_e32 v6, 0x30c90fdb
	v_fmamk_f32 v25, v4, 0x30c90fdb, v6
	v_cndmask_b32_e32 v3, v3, v5, vcc
	v_sqrt_f32_e32 v5, v3
	s_nop 0
	v_add_u32_e32 v4, -1, v5
	v_add_u32_e32 v6, 1, v5
	v_fma_f32 v7, -v4, v5, v3
	v_fma_f32 v27, -v6, v5, v3
	v_cmp_ge_f32_e64 s[0:1], 0, v7
	s_nop 1
	v_cndmask_b32_e64 v4, v5, v4, s[0:1]
	v_cmp_lt_f32_e64 s[0:1], 0, v27
	s_nop 1
	v_cndmask_b32_e64 v4, v4, v6, s[0:1]
	v_mul_f32_e32 v5, 0x37800000, v4
	v_cndmask_b32_e32 v4, v4, v5, vcc
	v_cmp_class_f32_e32 vcc, v3, v17
	s_nop 1
	v_cndmask_b32_e32 v3, v4, v3, vcc
	v_cndmask_b32_e64 v4, 0, 1, s[44:45]
	v_cmp_gt_i64_e32 vcc, s[20:21], v[10:11]
	v_cmp_ne_u32_e64 s[0:1], 1, v4
	s_and_saveexec_b64 s[74:75], vcc
	s_cbranch_execz .LBB3_35
; %bb.20:                               ;   in Loop: Header=BB3_9 Depth=1
	s_and_b64 vcc, exec, s[0:1]
	s_cbranch_vccnz .LBB3_26
; %bb.21:                               ;   in Loop: Header=BB3_9 Depth=1
	s_andn2_b64 vcc, exec, s[46:47]
	s_cbranch_vccnz .LBB3_27
; %bb.22:                               ;   in Loop: Header=BB3_9 Depth=1
	s_mov_b32 s12, 0
	s_andn2_b64 vcc, exec, s[56:57]
	v_mov_b32_e32 v4, 0
	s_cbranch_vccnz .LBB3_28
; %bb.23:                               ;   in Loop: Header=BB3_9 Depth=1
	s_mov_b32 s83, 0
	v_mov_b32_e32 v4, 0
	s_mov_b64 s[2:3], s[42:43]
	s_mov_b64 s[76:77], s[48:49]
	v_mov_b32_e32 v6, v10
.LBB3_24:                               ;   Parent Loop BB3_9 Depth=1
                                        ; =>  This Inner Loop Header: Depth=2
	s_load_dwordx8 s[12:19], s[2:3], 0x4
	s_load_dwordx4 s[28:31], s[2:3], 0x24
	s_load_dwordx4 s[36:39], s[76:77], 0x0
	s_add_u32 s2, s2, 48
	s_addc_u32 s3, s3, 0
	s_waitcnt lgkmcnt(0)
	v_mul_hi_u32 v5, s13, v6
	v_add_u32_e32 v5, v6, v5
	v_lshrrev_b32_e32 v5, s14, v5
	v_mul_lo_u32 v7, v5, s12
	v_mul_hi_u32 v27, s16, v5
	v_sub_u32_e32 v6, v6, v7
	v_add_u32_e32 v7, v5, v27
	v_lshrrev_b32_e32 v7, s17, v7
	v_mul_lo_u32 v27, v7, s15
	v_mul_hi_u32 v29, s19, v7
	v_sub_u32_e32 v5, v5, v27
	v_add_u32_e32 v27, v7, v29
	v_mul_lo_u32 v6, v6, s36
	v_mul_lo_u32 v5, v5, s37
	v_lshrrev_b32_e32 v27, s28, v27
	v_add3_u32 v4, v6, v4, v5
	v_mul_hi_u32 v6, s30, v27
	v_add_u32_e32 v6, v27, v6
	v_mul_lo_u32 v5, v27, s18
	v_lshrrev_b32_e32 v6, s31, v6
	s_add_i32 s83, s83, 4
	v_sub_u32_e32 v5, v7, v5
	v_mul_lo_u32 v7, v6, s29
	s_add_u32 s76, s76, 16
	v_sub_u32_e32 v7, v27, v7
	s_addc_u32 s77, s77, 0
	v_mul_lo_u32 v5, v5, s38
	v_mul_lo_u32 v7, v7, s39
	s_cmp_lg_u32 s11, s83
	v_add3_u32 v4, v5, v4, v7
	s_cbranch_scc1 .LBB3_24
; %bb.25:                               ;   in Loop: Header=BB3_9 Depth=1
	s_mov_b32 s12, s11
	s_andn2_b64 vcc, exec, s[60:61]
	s_cbranch_vccz .LBB3_29
	s_branch .LBB3_31
.LBB3_26:                               ;   in Loop: Header=BB3_9 Depth=1
                                        ; implicit-def: $vgpr4
	s_branch .LBB3_32
.LBB3_27:                               ;   in Loop: Header=BB3_9 Depth=1
	v_mov_b32_e32 v4, 0
	s_branch .LBB3_31
.LBB3_28:                               ;   in Loop: Header=BB3_9 Depth=1
	v_mov_b32_e32 v6, v10
	s_andn2_b64 vcc, exec, s[60:61]
	s_cbranch_vccnz .LBB3_31
.LBB3_29:                               ;   in Loop: Header=BB3_9 Depth=1
	s_lshl_b32 s2, s12, 2
	s_add_u32 s2, s48, s2
	s_addc_u32 s3, s49, 0
	s_mul_i32 s12, s12, 12
	s_add_u32 s12, s42, s12
	s_addc_u32 s13, s43, 0
	s_mov_b32 s14, s9
.LBB3_30:                               ;   Parent Loop BB3_9 Depth=1
                                        ; =>  This Inner Loop Header: Depth=2
	s_load_dwordx2 s[16:17], s[12:13], 0x4
	s_load_dword s15, s[12:13], 0xc
	s_load_dword s18, s[2:3], 0x0
	s_add_u32 s12, s12, 12
	s_addc_u32 s13, s13, 0
	s_waitcnt lgkmcnt(0)
	v_mul_hi_u32 v5, s17, v6
	v_add_u32_e32 v5, v6, v5
	v_lshrrev_b32_e32 v5, s15, v5
	s_add_u32 s2, s2, 4
	v_mul_lo_u32 v7, v5, s16
	s_addc_u32 s3, s3, 0
	s_add_i32 s14, s14, -1
	v_sub_u32_e32 v7, v6, v7
	s_cmp_lg_u32 s14, 0
	v_mov_b32_e32 v6, v5
	v_mad_u64_u32 v[4:5], s[16:17], v7, s18, v[4:5]
	s_cbranch_scc1 .LBB3_30
.LBB3_31:                               ;   in Loop: Header=BB3_9 Depth=1
	s_cbranch_execnz .LBB3_34
.LBB3_32:                               ;   in Loop: Header=BB3_9 Depth=1
	v_mul_hi_u32 v4, v10, s6
	v_add_u32_e32 v4, v4, v10
	v_lshrrev_b32_e32 v5, s7, v4
	v_mul_lo_u32 v4, v5, s5
	v_sub_u32_e32 v4, v10, v4
	s_andn2_b64 vcc, exec, s[50:51]
	s_waitcnt lgkmcnt(0)
	v_mul_lo_u32 v4, v4, s54
	s_cbranch_vccnz .LBB3_34
; %bb.33:                               ;   in Loop: Header=BB3_9 Depth=1
	v_mul_hi_u32 v6, s4, v5
	v_add_u32_e32 v6, v5, v6
	v_lshrrev_b32_e32 v6, s10, v6
	v_mul_lo_u32 v6, v6, s8
	v_sub_u32_e32 v5, v5, v6
	v_mad_u64_u32 v[4:5], s[2:3], v5, s55, v[4:5]
.LBB3_34:                               ;   in Loop: Header=BB3_9 Depth=1
	v_mul_f32_e32 v5, 0.15915494, v25
	v_sin_f32_e32 v5, v5
	s_waitcnt lgkmcnt(0)
	v_mov_b64_e32 v[6:7], s[26:27]
	v_mov_b64_e32 v[68:69], v[44:45]
	;; [unrolled: 1-line block ×3, first 2 shown]
	v_mul_f32_e32 v5, v5, v3
	v_cvt_f64_f32_e32 v[72:73], v5
	v_fma_f64 v[6:7], s[52:53], v[72:73], v[6:7]
	v_mul_f64 v[72:73], v[6:7], s[62:63]
	v_rndne_f64_e32 v[72:73], v[72:73]
	v_fma_f64 v[74:75], s[64:65], v[72:73], v[6:7]
	v_fmac_f64_e32 v[74:75], s[66:67], v[72:73]
	v_fmac_f64_e32 v[68:69], s[68:69], v[74:75]
	;; [unrolled: 1-line block ×3, first 2 shown]
	v_mov_b64_e32 v[68:69], v[48:49]
	v_fmac_f64_e32 v[68:69], v[74:75], v[70:71]
	v_mov_b64_e32 v[70:71], v[50:51]
	v_fmac_f64_e32 v[70:71], v[74:75], v[68:69]
	;; [unrolled: 2-line block ×7, first 2 shown]
	v_fma_f64 v[68:69], v[74:75], v[68:69], 1.0
	v_fma_f64 v[68:69], v[74:75], v[68:69], 1.0
	v_cvt_i32_f64_e32 v5, v[72:73]
	v_ldexp_f64 v[68:69], v[68:69], v5
	v_cmp_nlt_f64_e32 vcc, s[70:71], v[6:7]
	v_cmp_ngt_f64_e64 s[2:3], s[72:73], v[6:7]
	s_nop 0
	v_cndmask_b32_e32 v5, v19, v69, vcc
	s_and_b64 vcc, s[2:3], vcc
	v_cndmask_b32_e64 v7, 0, v5, s[2:3]
	v_cndmask_b32_e32 v6, 0, v68, vcc
	global_store_dwordx2 v4, v[6:7], s[24:25]
.LBB3_35:                               ;   in Loop: Header=BB3_9 Depth=1
	s_or_b64 exec, exec, s[74:75]
	v_lshl_add_u64 v[6:7], v[10:11], 0, s[22:23]
	v_cmp_gt_i64_e32 vcc, s[20:21], v[6:7]
	s_and_saveexec_b64 s[36:37], vcc
	s_cbranch_execz .LBB3_8
; %bb.36:                               ;   in Loop: Header=BB3_9 Depth=1
	s_and_b64 vcc, exec, s[0:1]
	s_cbranch_vccnz .LBB3_42
; %bb.37:                               ;   in Loop: Header=BB3_9 Depth=1
	s_andn2_b64 vcc, exec, s[46:47]
	s_cbranch_vccnz .LBB3_43
; %bb.38:                               ;   in Loop: Header=BB3_9 Depth=1
	s_mov_b32 s2, 0
	s_andn2_b64 vcc, exec, s[56:57]
	v_mov_b32_e32 v4, 0
	s_cbranch_vccnz .LBB3_44
; %bb.39:                               ;   in Loop: Header=BB3_9 Depth=1
	s_mov_b32 s76, 0
	v_mov_b32_e32 v4, 0
	s_mov_b64 s[38:39], s[42:43]
	s_mov_b64 s[74:75], s[48:49]
	v_mov_b32_e32 v7, v6
.LBB3_40:                               ;   Parent Loop BB3_9 Depth=1
                                        ; =>  This Inner Loop Header: Depth=2
	s_load_dwordx8 s[12:19], s[38:39], 0x4
	s_load_dwordx4 s[0:3], s[38:39], 0x24
	s_load_dwordx4 s[28:31], s[74:75], 0x0
	s_add_u32 s38, s38, 48
	s_addc_u32 s39, s39, 0
	s_waitcnt lgkmcnt(0)
	v_mul_hi_u32 v5, s13, v7
	v_add_u32_e32 v5, v7, v5
	v_lshrrev_b32_e32 v5, s14, v5
	v_mul_lo_u32 v27, v5, s12
	v_mul_hi_u32 v29, s16, v5
	v_sub_u32_e32 v7, v7, v27
	v_add_u32_e32 v27, v5, v29
	v_lshrrev_b32_e32 v27, s17, v27
	v_mul_lo_u32 v29, v27, s15
	v_mul_hi_u32 v31, s19, v27
	v_sub_u32_e32 v5, v5, v29
	v_add_u32_e32 v29, v27, v31
	v_mul_lo_u32 v7, v7, s28
	v_mul_lo_u32 v5, v5, s29
	v_lshrrev_b32_e32 v29, s0, v29
	v_add3_u32 v4, v7, v4, v5
	v_mul_hi_u32 v7, s2, v29
	v_add_u32_e32 v7, v29, v7
	v_mul_lo_u32 v5, v29, s18
	v_lshrrev_b32_e32 v7, s3, v7
	s_add_i32 s76, s76, 4
	v_sub_u32_e32 v5, v27, v5
	v_mul_lo_u32 v27, v7, s1
	s_add_u32 s74, s74, 16
	v_sub_u32_e32 v27, v29, v27
	s_addc_u32 s75, s75, 0
	v_mul_lo_u32 v5, v5, s30
	v_mul_lo_u32 v27, v27, s31
	s_cmp_eq_u32 s11, s76
	v_add3_u32 v4, v5, v4, v27
	s_cbranch_scc0 .LBB3_40
; %bb.41:                               ;   in Loop: Header=BB3_9 Depth=1
	s_mov_b32 s2, s11
	s_andn2_b64 vcc, exec, s[60:61]
	s_cbranch_vccz .LBB3_45
	s_branch .LBB3_47
.LBB3_42:                               ;   in Loop: Header=BB3_9 Depth=1
                                        ; implicit-def: $vgpr4
	s_branch .LBB3_48
.LBB3_43:                               ;   in Loop: Header=BB3_9 Depth=1
	v_mov_b32_e32 v4, 0
	s_branch .LBB3_47
.LBB3_44:                               ;   in Loop: Header=BB3_9 Depth=1
	v_mov_b32_e32 v7, v6
	s_andn2_b64 vcc, exec, s[60:61]
	s_cbranch_vccnz .LBB3_47
.LBB3_45:                               ;   in Loop: Header=BB3_9 Depth=1
	s_lshl_b32 s0, s2, 2
	s_add_u32 s0, s48, s0
	s_addc_u32 s1, s49, 0
	s_mul_i32 s2, s2, 12
	s_add_u32 s2, s42, s2
	s_addc_u32 s3, s43, 0
	s_mov_b32 s12, s9
.LBB3_46:                               ;   Parent Loop BB3_9 Depth=1
                                        ; =>  This Inner Loop Header: Depth=2
	s_load_dwordx2 s[14:15], s[2:3], 0x4
	s_load_dword s13, s[2:3], 0xc
	s_load_dword s16, s[0:1], 0x0
	s_add_u32 s2, s2, 12
	s_addc_u32 s3, s3, 0
	s_waitcnt lgkmcnt(0)
	v_mul_hi_u32 v5, s15, v7
	v_add_u32_e32 v5, v7, v5
	v_lshrrev_b32_e32 v5, s13, v5
	s_add_u32 s0, s0, 4
	v_mul_lo_u32 v27, v5, s14
	s_addc_u32 s1, s1, 0
	s_add_i32 s12, s12, -1
	v_sub_u32_e32 v27, v7, v27
	s_cmp_lg_u32 s12, 0
	v_mov_b32_e32 v7, v5
	v_mad_u64_u32 v[4:5], s[14:15], v27, s16, v[4:5]
	s_cbranch_scc1 .LBB3_46
.LBB3_47:                               ;   in Loop: Header=BB3_9 Depth=1
	s_cbranch_execnz .LBB3_7
.LBB3_48:                               ;   in Loop: Header=BB3_9 Depth=1
	v_mul_hi_u32 v4, v6, s6
	v_add_u32_e32 v4, v4, v6
	v_lshrrev_b32_e32 v5, s7, v4
	v_mul_lo_u32 v4, v5, s5
	v_sub_u32_e32 v4, v6, v4
	s_andn2_b64 vcc, exec, s[50:51]
	s_waitcnt lgkmcnt(0)
	v_mul_lo_u32 v4, v4, s54
	s_cbranch_vccnz .LBB3_7
; %bb.49:                               ;   in Loop: Header=BB3_9 Depth=1
	v_mul_hi_u32 v6, s4, v5
	v_add_u32_e32 v6, v5, v6
	v_lshrrev_b32_e32 v6, s10, v6
	v_mul_lo_u32 v6, v6, s8
	v_sub_u32_e32 v5, v5, v6
	v_mad_u64_u32 v[4:5], s[0:1], v5, s55, v[4:5]
	s_branch .LBB3_7
.LBB3_50:
	s_endpgm
.LBB3_51:
                                        ; implicit-def: $sgpr6_sgpr7
	s_andn2_b64 vcc, exec, s[4:5]
	s_cbranch_vccz .LBB3_4
	s_branch .LBB3_5
	.section	.rodata,"a",@progbits
	.p2align	6, 0x0
	.amdhsa_kernel _ZN2at6native12_GLOBAL__N_143distribution_elementwise_grid_stride_kernelIdLi2EZNS0_9templates4cuda20normal_and_transformIddPNS_17CUDAGeneratorImplEZZZNS4_17log_normal_kernelIS7_EEvRNS_18TensorIteratorBaseEddT_ENKUlvE_clEvENKUlvE_clEvEUldE_EEvSA_T1_T2_EUlP25hiprandStatePhilox4_32_10E0_ZNS1_27distribution_nullary_kernelIdd15HIP_vector_typeIfLj4EES7_SJ_SE_EEvSA_SG_RKT3_T4_EUlidE0_EEvlNS_15PhiloxCudaStateESF_SG_
		.amdhsa_group_segment_fixed_size 0
		.amdhsa_private_segment_fixed_size 0
		.amdhsa_kernarg_size 592
		.amdhsa_user_sgpr_count 2
		.amdhsa_user_sgpr_dispatch_ptr 0
		.amdhsa_user_sgpr_queue_ptr 0
		.amdhsa_user_sgpr_kernarg_segment_ptr 1
		.amdhsa_user_sgpr_dispatch_id 0
		.amdhsa_user_sgpr_kernarg_preload_length 0
		.amdhsa_user_sgpr_kernarg_preload_offset 0
		.amdhsa_user_sgpr_private_segment_size 0
		.amdhsa_uses_dynamic_stack 0
		.amdhsa_enable_private_segment 0
		.amdhsa_system_sgpr_workgroup_id_x 1
		.amdhsa_system_sgpr_workgroup_id_y 0
		.amdhsa_system_sgpr_workgroup_id_z 0
		.amdhsa_system_sgpr_workgroup_info 0
		.amdhsa_system_vgpr_workitem_id 0
		.amdhsa_next_free_vgpr 76
		.amdhsa_next_free_sgpr 84
		.amdhsa_accum_offset 76
		.amdhsa_reserve_vcc 1
		.amdhsa_float_round_mode_32 0
		.amdhsa_float_round_mode_16_64 0
		.amdhsa_float_denorm_mode_32 3
		.amdhsa_float_denorm_mode_16_64 3
		.amdhsa_dx10_clamp 1
		.amdhsa_ieee_mode 1
		.amdhsa_fp16_overflow 0
		.amdhsa_tg_split 0
		.amdhsa_exception_fp_ieee_invalid_op 0
		.amdhsa_exception_fp_denorm_src 0
		.amdhsa_exception_fp_ieee_div_zero 0
		.amdhsa_exception_fp_ieee_overflow 0
		.amdhsa_exception_fp_ieee_underflow 0
		.amdhsa_exception_fp_ieee_inexact 0
		.amdhsa_exception_int_div_zero 0
	.end_amdhsa_kernel
	.section	.text._ZN2at6native12_GLOBAL__N_143distribution_elementwise_grid_stride_kernelIdLi2EZNS0_9templates4cuda20normal_and_transformIddPNS_17CUDAGeneratorImplEZZZNS4_17log_normal_kernelIS7_EEvRNS_18TensorIteratorBaseEddT_ENKUlvE_clEvENKUlvE_clEvEUldE_EEvSA_T1_T2_EUlP25hiprandStatePhilox4_32_10E0_ZNS1_27distribution_nullary_kernelIdd15HIP_vector_typeIfLj4EES7_SJ_SE_EEvSA_SG_RKT3_T4_EUlidE0_EEvlNS_15PhiloxCudaStateESF_SG_,"axG",@progbits,_ZN2at6native12_GLOBAL__N_143distribution_elementwise_grid_stride_kernelIdLi2EZNS0_9templates4cuda20normal_and_transformIddPNS_17CUDAGeneratorImplEZZZNS4_17log_normal_kernelIS7_EEvRNS_18TensorIteratorBaseEddT_ENKUlvE_clEvENKUlvE_clEvEUldE_EEvSA_T1_T2_EUlP25hiprandStatePhilox4_32_10E0_ZNS1_27distribution_nullary_kernelIdd15HIP_vector_typeIfLj4EES7_SJ_SE_EEvSA_SG_RKT3_T4_EUlidE0_EEvlNS_15PhiloxCudaStateESF_SG_,comdat
.Lfunc_end3:
	.size	_ZN2at6native12_GLOBAL__N_143distribution_elementwise_grid_stride_kernelIdLi2EZNS0_9templates4cuda20normal_and_transformIddPNS_17CUDAGeneratorImplEZZZNS4_17log_normal_kernelIS7_EEvRNS_18TensorIteratorBaseEddT_ENKUlvE_clEvENKUlvE_clEvEUldE_EEvSA_T1_T2_EUlP25hiprandStatePhilox4_32_10E0_ZNS1_27distribution_nullary_kernelIdd15HIP_vector_typeIfLj4EES7_SJ_SE_EEvSA_SG_RKT3_T4_EUlidE0_EEvlNS_15PhiloxCudaStateESF_SG_, .Lfunc_end3-_ZN2at6native12_GLOBAL__N_143distribution_elementwise_grid_stride_kernelIdLi2EZNS0_9templates4cuda20normal_and_transformIddPNS_17CUDAGeneratorImplEZZZNS4_17log_normal_kernelIS7_EEvRNS_18TensorIteratorBaseEddT_ENKUlvE_clEvENKUlvE_clEvEUldE_EEvSA_T1_T2_EUlP25hiprandStatePhilox4_32_10E0_ZNS1_27distribution_nullary_kernelIdd15HIP_vector_typeIfLj4EES7_SJ_SE_EEvSA_SG_RKT3_T4_EUlidE0_EEvlNS_15PhiloxCudaStateESF_SG_
                                        ; -- End function
	.section	.AMDGPU.csdata,"",@progbits
; Kernel info:
; codeLenInByte = 4144
; NumSgprs: 90
; NumVgprs: 76
; NumAgprs: 0
; TotalNumVgprs: 76
; ScratchSize: 0
; MemoryBound: 0
; FloatMode: 240
; IeeeMode: 1
; LDSByteSize: 0 bytes/workgroup (compile time only)
; SGPRBlocks: 11
; VGPRBlocks: 9
; NumSGPRsForWavesPerEU: 90
; NumVGPRsForWavesPerEU: 76
; AccumOffset: 76
; Occupancy: 6
; WaveLimiterHint : 1
; COMPUTE_PGM_RSRC2:SCRATCH_EN: 0
; COMPUTE_PGM_RSRC2:USER_SGPR: 2
; COMPUTE_PGM_RSRC2:TRAP_HANDLER: 0
; COMPUTE_PGM_RSRC2:TGID_X_EN: 1
; COMPUTE_PGM_RSRC2:TGID_Y_EN: 0
; COMPUTE_PGM_RSRC2:TGID_Z_EN: 0
; COMPUTE_PGM_RSRC2:TIDIG_COMP_CNT: 0
; COMPUTE_PGM_RSRC3_GFX90A:ACCUM_OFFSET: 18
; COMPUTE_PGM_RSRC3_GFX90A:TG_SPLIT: 0
	.section	.text._ZN2at6native12_GLOBAL__N_143distribution_elementwise_grid_stride_kernelIfLi4EZNS0_9templates4cuda20normal_and_transformIffPNS_17CUDAGeneratorImplEZZZNS4_17log_normal_kernelIS7_EEvRNS_18TensorIteratorBaseEddT_ENKUlvE_clEvENKUlvE0_clEvEUlfE_EEvSA_T1_T2_EUlP25hiprandStatePhilox4_32_10E_ZNS1_27distribution_nullary_kernelIff15HIP_vector_typeIdLj2EES7_SJ_SE_EEvSA_SG_RKT3_T4_EUlifE_EEvlNS_15PhiloxCudaStateESF_SG_,"axG",@progbits,_ZN2at6native12_GLOBAL__N_143distribution_elementwise_grid_stride_kernelIfLi4EZNS0_9templates4cuda20normal_and_transformIffPNS_17CUDAGeneratorImplEZZZNS4_17log_normal_kernelIS7_EEvRNS_18TensorIteratorBaseEddT_ENKUlvE_clEvENKUlvE0_clEvEUlfE_EEvSA_T1_T2_EUlP25hiprandStatePhilox4_32_10E_ZNS1_27distribution_nullary_kernelIff15HIP_vector_typeIdLj2EES7_SJ_SE_EEvSA_SG_RKT3_T4_EUlifE_EEvlNS_15PhiloxCudaStateESF_SG_,comdat
	.globl	_ZN2at6native12_GLOBAL__N_143distribution_elementwise_grid_stride_kernelIfLi4EZNS0_9templates4cuda20normal_and_transformIffPNS_17CUDAGeneratorImplEZZZNS4_17log_normal_kernelIS7_EEvRNS_18TensorIteratorBaseEddT_ENKUlvE_clEvENKUlvE0_clEvEUlfE_EEvSA_T1_T2_EUlP25hiprandStatePhilox4_32_10E_ZNS1_27distribution_nullary_kernelIff15HIP_vector_typeIdLj2EES7_SJ_SE_EEvSA_SG_RKT3_T4_EUlifE_EEvlNS_15PhiloxCudaStateESF_SG_ ; -- Begin function _ZN2at6native12_GLOBAL__N_143distribution_elementwise_grid_stride_kernelIfLi4EZNS0_9templates4cuda20normal_and_transformIffPNS_17CUDAGeneratorImplEZZZNS4_17log_normal_kernelIS7_EEvRNS_18TensorIteratorBaseEddT_ENKUlvE_clEvENKUlvE0_clEvEUlfE_EEvSA_T1_T2_EUlP25hiprandStatePhilox4_32_10E_ZNS1_27distribution_nullary_kernelIff15HIP_vector_typeIdLj2EES7_SJ_SE_EEvSA_SG_RKT3_T4_EUlifE_EEvlNS_15PhiloxCudaStateESF_SG_
	.p2align	8
	.type	_ZN2at6native12_GLOBAL__N_143distribution_elementwise_grid_stride_kernelIfLi4EZNS0_9templates4cuda20normal_and_transformIffPNS_17CUDAGeneratorImplEZZZNS4_17log_normal_kernelIS7_EEvRNS_18TensorIteratorBaseEddT_ENKUlvE_clEvENKUlvE0_clEvEUlfE_EEvSA_T1_T2_EUlP25hiprandStatePhilox4_32_10E_ZNS1_27distribution_nullary_kernelIff15HIP_vector_typeIdLj2EES7_SJ_SE_EEvSA_SG_RKT3_T4_EUlifE_EEvlNS_15PhiloxCudaStateESF_SG_,@function
_ZN2at6native12_GLOBAL__N_143distribution_elementwise_grid_stride_kernelIfLi4EZNS0_9templates4cuda20normal_and_transformIffPNS_17CUDAGeneratorImplEZZZNS4_17log_normal_kernelIS7_EEvRNS_18TensorIteratorBaseEddT_ENKUlvE_clEvENKUlvE0_clEvEUlfE_EEvSA_T1_T2_EUlP25hiprandStatePhilox4_32_10E_ZNS1_27distribution_nullary_kernelIff15HIP_vector_typeIdLj2EES7_SJ_SE_EEvSA_SG_RKT3_T4_EUlifE_EEvlNS_15PhiloxCudaStateESF_SG_: ; @_ZN2at6native12_GLOBAL__N_143distribution_elementwise_grid_stride_kernelIfLi4EZNS0_9templates4cuda20normal_and_transformIffPNS_17CUDAGeneratorImplEZZZNS4_17log_normal_kernelIS7_EEvRNS_18TensorIteratorBaseEddT_ENKUlvE_clEvENKUlvE0_clEvEUlfE_EEvSA_T1_T2_EUlP25hiprandStatePhilox4_32_10E_ZNS1_27distribution_nullary_kernelIff15HIP_vector_typeIdLj2EES7_SJ_SE_EEvSA_SG_RKT3_T4_EUlifE_EEvlNS_15PhiloxCudaStateESF_SG_
; %bb.0:
	s_load_dword s3, s[0:1], 0x20
	s_load_dwordx2 s[8:9], s[0:1], 0x10
	s_load_dwordx4 s[4:7], s[0:1], 0x0
	s_mov_b32 s13, 0
	s_waitcnt lgkmcnt(0)
	s_bitcmp0_b32 s3, 0
	v_mov_b64_e32 v[2:3], s[8:9]
	v_mov_b64_e32 v[12:13], s[6:7]
	s_cbranch_scc1 .LBB4_2
; %bb.1:
	v_mov_b64_e32 v[4:5], s[8:9]
	v_mov_b64_e32 v[2:3], s[6:7]
	flat_load_dwordx2 v[6:7], v[4:5]
	flat_load_dwordx2 v[12:13], v[2:3]
	s_load_dwordx2 s[6:7], s[0:1], 0x18
	s_waitcnt vmcnt(0) lgkmcnt(0)
	v_lshl_add_u64 v[2:3], v[6:7], 0, s[6:7]
.LBB4_2:
	s_load_dword s3, s[0:1], 0x54
	s_load_dword s22, s[0:1], 0x48
	s_mov_b32 s10, s13
	s_mov_b64 s[8:9], -1
	s_waitcnt lgkmcnt(0)
	s_and_b32 s3, s3, 0xffff
	s_add_u32 s7, s4, -1
	s_mul_i32 s6, s22, s3
	s_addc_u32 s11, s5, -1
	s_lshl_b32 s12, s6, 2
	s_cmp_lg_u64 s[10:11], 0
	s_cbranch_scc0 .LBB4_27
; %bb.3:
	v_cvt_f32_u32_e32 v1, s12
	v_cvt_f32_ubyte0_e32 v4, 0
	s_sub_u32 s10, 0, s12
	s_subb_u32 s14, 0, 0
	v_fmamk_f32 v1, v4, 0x4f800000, v1
	v_rcp_f32_e32 v1, v1
	s_nop 0
	v_mul_f32_e32 v1, 0x5f7ffffc, v1
	v_mul_f32_e32 v4, 0x2f800000, v1
	v_trunc_f32_e32 v4, v4
	v_fmamk_f32 v1, v4, 0xcf800000, v1
	v_cvt_u32_f32_e32 v4, v4
	v_cvt_u32_f32_e32 v1, v1
	v_readfirstlane_b32 s15, v4
	v_readfirstlane_b32 s16, v1
	s_mul_i32 s17, s10, s15
	s_mul_hi_u32 s19, s10, s16
	s_mul_i32 s18, s14, s16
	s_add_i32 s17, s19, s17
	s_add_i32 s17, s17, s18
	s_mul_i32 s20, s10, s16
	s_mul_hi_u32 s18, s16, s17
	s_mul_i32 s19, s16, s17
	s_mul_hi_u32 s16, s16, s20
	s_add_u32 s16, s16, s19
	s_addc_u32 s18, 0, s18
	s_mul_hi_u32 s21, s15, s20
	s_mul_i32 s20, s15, s20
	s_add_u32 s16, s16, s20
	s_mul_hi_u32 s19, s15, s17
	s_addc_u32 s16, s18, s21
	s_addc_u32 s18, s19, 0
	s_mul_i32 s17, s15, s17
	s_add_u32 s16, s16, s17
	s_addc_u32 s17, 0, s18
	v_add_co_u32_e32 v1, vcc, s16, v1
	s_cmp_lg_u64 vcc, 0
	s_addc_u32 s15, s15, s17
	v_readfirstlane_b32 s17, v1
	s_mul_i32 s16, s10, s15
	s_mul_hi_u32 s18, s10, s17
	s_add_i32 s16, s18, s16
	s_mul_i32 s14, s14, s17
	s_add_i32 s16, s16, s14
	s_mul_i32 s10, s10, s17
	s_mul_hi_u32 s18, s15, s10
	s_mul_i32 s19, s15, s10
	s_mul_i32 s21, s17, s16
	s_mul_hi_u32 s10, s17, s10
	s_mul_hi_u32 s20, s17, s16
	s_add_u32 s10, s10, s21
	s_addc_u32 s17, 0, s20
	s_add_u32 s10, s10, s19
	s_mul_hi_u32 s14, s15, s16
	s_addc_u32 s10, s17, s18
	s_addc_u32 s14, s14, 0
	s_mul_i32 s16, s15, s16
	s_add_u32 s10, s10, s16
	s_addc_u32 s14, 0, s14
	v_add_co_u32_e32 v1, vcc, s10, v1
	s_cmp_lg_u64 vcc, 0
	s_addc_u32 s16, s15, s14
	s_ashr_i32 s14, s11, 31
	s_add_u32 s10, s7, s14
	s_mov_b32 s15, s14
	s_addc_u32 s11, s11, s14
	s_xor_b64 s[10:11], s[10:11], s[14:15]
	v_readfirstlane_b32 s19, v1
	s_mul_i32 s18, s10, s16
	s_mul_hi_u32 s20, s10, s19
	s_mul_hi_u32 s17, s10, s16
	s_add_u32 s18, s20, s18
	s_addc_u32 s17, 0, s17
	s_mul_hi_u32 s21, s11, s19
	s_mul_i32 s19, s11, s19
	s_add_u32 s18, s18, s19
	s_mul_hi_u32 s20, s11, s16
	s_addc_u32 s17, s17, s21
	s_addc_u32 s18, s20, 0
	s_mul_i32 s16, s11, s16
	s_add_u32 s16, s17, s16
	s_addc_u32 s17, 0, s18
	s_add_u32 s18, s16, 1
	s_addc_u32 s19, s17, 0
	s_add_u32 s20, s16, 2
	s_mul_i32 s23, s12, s17
	s_mul_hi_u32 s24, s12, s16
	s_addc_u32 s21, s17, 0
	s_add_i32 s24, s24, s23
	s_mul_i32 s23, s12, s16
	v_mov_b32_e32 v1, s23
	v_sub_co_u32_e32 v1, vcc, s10, v1
	s_cmp_lg_u64 vcc, 0
	s_subb_u32 s10, s11, s24
	v_subrev_co_u32_e32 v4, vcc, s12, v1
	s_cmp_lg_u64 vcc, 0
	s_subb_u32 s11, s10, 0
	v_readfirstlane_b32 s23, v4
	s_cmp_ge_u32 s23, s12
	s_cselect_b32 s23, -1, 0
	s_cmp_eq_u32 s11, 0
	s_cselect_b32 s11, s23, -1
	s_cmp_lg_u32 s11, 0
	s_cselect_b32 s11, s21, s19
	v_readfirstlane_b32 s19, v1
	s_cselect_b32 s18, s20, s18
	s_cmp_ge_u32 s19, s12
	s_cselect_b32 s19, -1, 0
	s_cmp_eq_u32 s10, 0
	s_cselect_b32 s10, s19, -1
	s_cmp_lg_u32 s10, 0
	s_cselect_b32 s11, s11, s17
	s_cselect_b32 s10, s18, s16
	s_xor_b64 s[10:11], s[10:11], s[14:15]
	s_sub_u32 s10, s10, s14
	s_subb_u32 s11, s11, s14
	s_cbranch_execnz .LBB4_5
.LBB4_4:
	v_cvt_f32_u32_e32 v1, s12
	s_sub_i32 s8, 0, s12
	s_mov_b32 s11, 0
	v_rcp_iflag_f32_e32 v1, v1
	s_nop 0
	v_mul_f32_e32 v1, 0x4f7ffffe, v1
	v_cvt_u32_f32_e32 v1, v1
	s_nop 0
	v_readfirstlane_b32 s9, v1
	s_mul_i32 s8, s8, s9
	s_mul_hi_u32 s8, s9, s8
	s_add_i32 s9, s9, s8
	s_mul_hi_u32 s8, s7, s9
	s_mul_i32 s10, s8, s12
	s_sub_i32 s7, s7, s10
	s_add_i32 s9, s8, 1
	s_sub_i32 s10, s7, s12
	s_cmp_ge_u32 s7, s12
	s_cselect_b32 s8, s9, s8
	s_cselect_b32 s7, s10, s7
	s_add_i32 s9, s8, 1
	s_cmp_ge_u32 s7, s12
	s_cselect_b32 s10, s9, s8
.LBB4_5:
	v_mov_b32_e32 v1, 0
	v_mov_b32_e32 v4, s2
	v_mad_u64_u32 v[14:15], s[8:9], s3, v4, v[0:1]
	s_add_u32 s7, s10, 1
	s_addc_u32 s8, s11, 0
	s_mul_hi_u32 s9, s22, s3
	s_mul_i32 s8, s6, s8
	s_mul_hi_u32 s10, s6, s7
	s_add_i32 s8, s10, s8
	s_mul_i32 s9, s9, s7
	s_add_i32 s9, s8, s9
	s_mul_i32 s8, s6, s7
	s_lshl_b64 s[14:15], s[8:9], 2
	v_cmp_gt_i64_e32 vcc, s[14:15], v[14:15]
	s_and_saveexec_b64 s[8:9], vcc
	s_cbranch_execz .LBB4_26
; %bb.6:
	s_load_dwordx4 s[8:11], s[0:1], 0x38
	s_load_dwordx2 s[16:17], s[0:1], 0x30
	v_mov_b32_e32 v4, v13
	v_mov_b32_e32 v5, v1
	s_mov_b64 s[0:1], 0xdb3d7428
	v_lshl_add_u64 v[16:17], v[4:5], 0, s[0:1]
	s_mov_b64 s[0:1], 0x5384540f
	v_lshl_add_u64 v[18:19], v[12:13], 0, s[0:1]
	;; [unrolled: 2-line block ×7, first 2 shown]
	s_mov_b64 s[0:1], 0x9e3779b9
	v_alignbit_b32 v17, v3, v2, 2
	s_waitcnt lgkmcnt(0)
	s_mov_b32 s11, 0xd2511f53
	v_lshl_add_u64 v[30:31], v[12:13], 0, s[0:1]
	v_mad_u64_u32 v[6:7], s[0:1], v17, s11, 0
	v_and_b32_e32 v86, 3, v2
	v_xor_b32_e32 v2, v7, v13
	v_xor_b32_e32 v2, v2, v15
	s_mov_b32 s33, 0xcd9e8d57
	v_mad_u64_u32 v[8:9], s[0:1], v2, s33, 0
	v_xor_b32_e32 v2, v30, v9
	v_mad_u64_u32 v[10:11], s[0:1], v14, s33, 0
	v_xor_b32_e32 v2, v2, v10
	;; [unrolled: 2-line block ×3, first 2 shown]
	v_lshrrev_b32_e32 v19, 2, v3
	v_xor_b32_e32 v2, v2, v19
	v_xor_b32_e32 v7, v28, v39
	v_mad_u64_u32 v[2:3], s[0:1], v2, s11, 0
	v_xor_b32_e32 v2, v7, v2
	v_mad_u64_u32 v[10:11], s[0:1], v2, s33, 0
	s_mov_b64 s[0:1], 0xbb67ae85
	s_nop 0
	v_lshl_add_u64 v[32:33], v[4:5], 0, s[0:1]
	v_xor_b32_e32 v2, v32, v3
	v_xor_b32_e32 v2, v2, v6
	v_xor_b32_e32 v7, v26, v11
	v_mad_u64_u32 v[2:3], s[0:1], v2, s33, 0
	v_xor_b32_e32 v2, v7, v2
	v_mad_u64_u32 v[6:7], s[0:1], v2, s11, 0
	s_mov_b64 s[0:1], 0x3c6ef372
	s_nop 0
	v_lshl_add_u64 v[34:35], v[12:13], 0, s[0:1]
	v_xor_b32_e32 v2, v34, v3
	;; [unrolled: 9-line block ×7, first 2 shown]
	v_xor_b32_e32 v2, v2, v46
	v_mad_u64_u32 v[2:3], s[0:1], v2, s33, 0
	s_mov_b64 s[0:1], 0xf1bbcdc8
	v_add_u32_e32 v87, 0x8ff34781, v12
	v_xor_b32_e32 v2, v51, v2
	v_lshl_add_u64 v[46:47], v[12:13], 0, s[0:1]
	v_xor_b32_e32 v6, v87, v2
	v_xor_b32_e32 v2, v46, v3
	;; [unrolled: 1-line block ×3, first 2 shown]
	v_mad_u64_u32 v[2:3], s[0:1], v2, s11, 0
	v_add_u32_e32 v88, 0x96a522ad, v13
	v_xor_b32_e32 v3, v3, v48
	v_xor_b32_e32 v8, v88, v3
	v_mov_b32_e32 v9, v2
	v_mov_b32_e32 v2, 0xffc00000
	;; [unrolled: 1-line block ×3, first 2 shown]
	v_fmac_f32_e32 v2, s0, v3
	v_mov_b32_e32 v3, 0x32a5705f
	v_fmac_f32_e32 v2, s0, v3
	v_rndne_f32_e32 v3, 0x7fc00000
	v_sub_f32_e32 v4, 0x7fc00000, v3
	v_add_f32_e32 v2, v4, v2
	v_exp_f32_e32 v2, v2
	v_cvt_i32_f32_e32 v3, v3
	s_mul_i32 s0, s2, s3
	s_mov_b32 s7, 0
	s_mov_b32 s24, 0x55555555
	v_ldexp_f32 v21, v2, v3
	v_add_u32_e32 v2, s0, v0
	s_mul_i32 s0, s22, s8
	s_mul_i32 s0, s0, s3
	s_lshl_b32 s47, s0, 2
	s_mul_i32 s0, s22, 3
	s_add_i32 s0, s2, s0
	s_mul_i32 s0, s0, s3
	v_mul_lo_u32 v23, s8, v2
	v_add_u32_e32 v2, s0, v0
	s_lshl_b32 s0, s22, 1
	s_add_i32 s0, s2, s0
	s_mul_i32 s0, s0, s3
	v_mul_lo_u32 v25, s8, v2
	v_add_u32_e32 v2, s0, v0
	s_add_i32 s0, s2, s22
	s_mul_i32 s0, s0, s3
	v_add_u32_e32 v0, s0, v0
	s_mov_b32 s26, 0xbf559e2b
	s_mov_b32 s28, 0xfefa39ef
	;; [unrolled: 1-line block ×8, first 2 shown]
	v_mov_b32_e32 v7, v50
	s_lshl_b32 s18, s6, 1
	s_mov_b32 s19, s7
	s_mov_b32 s46, 0x3fb8aa3b
	s_mul_i32 s20, s6, 3
	s_mov_b32 s21, s7
	v_mul_lo_u32 v27, s8, v2
	v_mul_lo_u32 v29, s8, v0
	s_mov_b64 s[22:23], 0
	s_mov_b32 s25, 0x3fe55555
	s_mov_b32 s27, 0x3fc3ab76
	;; [unrolled: 1-line block ×5, first 2 shown]
	s_brev_b32 s37, 8
	s_mov_b32 s39, 0x3f3e357e
	s_mov_b32 s41, 0x400921fb
	;; [unrolled: 1-line block ×5, first 2 shown]
	v_mov_b32_e32 v48, 0x6b47b09a
	v_mov_b32_e32 v49, 0x3fc38538
	;; [unrolled: 1-line block ×34, first 2 shown]
	s_mov_b32 s49, s7
	v_mov_b32_e32 v31, 0x7ff80000
	v_mov_b32_e32 v33, 0x7f800000
	;; [unrolled: 1-line block ×4, first 2 shown]
	s_branch .LBB4_8
.LBB4_7:                                ;   in Loop: Header=BB4_8 Depth=1
	s_or_b64 exec, exec, s[0:1]
	v_mov_b32_e32 v5, v82
	v_lshl_add_u64 v[14:15], v[14:15], 0, s[12:13]
	s_add_i32 s49, s49, s47
	v_cmp_le_i64_e32 vcc, s[14:15], v[14:15]
	v_mov_b64_e32 v[8:9], v[4:5]
	s_or_b64 s[22:23], vcc, s[22:23]
	v_mov_b64_e32 v[6:7], v[2:3]
	s_barrier
	s_andn2_b64 exec, exec, s[22:23]
	s_cbranch_execz .LBB4_26
.LBB4_8:                                ; =>This Inner Loop Header: Depth=1
	v_add_co_u32_e32 v17, vcc, 1, v17
	v_mad_u64_u32 v[2:3], s[0:1], v17, s11, 0
	s_nop 0
	v_cndmask_b32_e64 v0, 0, 1, vcc
	v_addc_co_u32_e32 v19, vcc, 0, v19, vcc
	v_cmp_eq_u32_e32 vcc, 0, v19
	v_xor_b32_e32 v3, v3, v13
	s_nop 0
	v_cndmask_b32_e32 v0, 0, v0, vcc
	v_add_u32_e32 v35, v0, v35
	v_cmp_eq_u32_e32 vcc, 0, v35
	v_mad_u64_u32 v[4:5], s[0:1], v35, s33, 0
	s_nop 0
	v_cndmask_b32_e32 v0, 0, v0, vcc
	v_add_u32_e32 v37, v0, v37
	v_xor_b32_e32 v0, v5, v12
	v_xor_b32_e32 v0, v19, v0
	v_xor_b32_e32 v3, v37, v3
	v_mad_u64_u32 v[10:11], s[0:1], v0, s11, 0
	v_mad_u64_u32 v[82:83], s[0:1], v3, s33, 0
	v_xor_b32_e32 v0, v30, v83
	v_xor_b32_e32 v3, v32, v11
	v_xor_b32_e32 v0, v0, v4
	v_xor_b32_e32 v4, v3, v2
	v_mad_u64_u32 v[2:3], s[0:1], v0, s11, 0
	v_mad_u64_u32 v[4:5], s[0:1], v4, s33, 0
	v_xor_b32_e32 v0, v34, v5
	;; [unrolled: 6-line block ×9, first 2 shown]
	v_xor_b32_e32 v2, v87, v0
	v_xor_b32_e32 v0, v83, v4
	;; [unrolled: 1-line block ×3, first 2 shown]
	v_mov_b32_e32 v3, v10
	v_mov_b32_e32 v4, v11
	v_cmp_lt_i32_e32 vcc, 1, v86
	s_and_saveexec_b64 s[0:1], vcc
	s_xor_b64 s[0:1], exec, s[0:1]
	s_cbranch_execz .LBB4_14
; %bb.9:                                ;   in Loop: Header=BB4_8 Depth=1
	v_cmp_lt_i32_e32 vcc, 2, v86
	s_and_saveexec_b64 s[2:3], vcc
	s_xor_b64 s[2:3], exec, s[2:3]
; %bb.10:                               ;   in Loop: Header=BB4_8 Depth=1
	v_mov_b32_e32 v8, v9
	v_mov_b32_e32 v9, v2
	v_mov_b64_e32 v[6:7], v[8:9]
	v_mov_b64_e32 v[8:9], v[10:11]
                                        ; implicit-def: $vgpr10_vgpr11
; %bb.11:                               ;   in Loop: Header=BB4_8 Depth=1
	s_andn2_saveexec_b64 s[2:3], s[2:3]
; %bb.12:                               ;   in Loop: Header=BB4_8 Depth=1
	v_mov_b32_e32 v6, v8
	v_mov_b32_e32 v7, v9
	;; [unrolled: 1-line block ×4, first 2 shown]
; %bb.13:                               ;   in Loop: Header=BB4_8 Depth=1
	s_or_b64 exec, exec, s[2:3]
.LBB4_14:                               ;   in Loop: Header=BB4_8 Depth=1
	s_andn2_saveexec_b64 s[0:1], s[0:1]
	s_cbranch_execz .LBB4_18
; %bb.15:                               ;   in Loop: Header=BB4_8 Depth=1
	v_cmp_eq_u32_e32 vcc, 1, v86
	s_and_saveexec_b64 s[2:3], vcc
; %bb.16:                               ;   in Loop: Header=BB4_8 Depth=1
	v_mov_b32_e32 v6, v7
	v_mov_b32_e32 v7, v8
	;; [unrolled: 1-line block ×4, first 2 shown]
; %bb.17:                               ;   in Loop: Header=BB4_8 Depth=1
	s_or_b64 exec, exec, s[2:3]
.LBB4_18:                               ;   in Loop: Header=BB4_8 Depth=1
	s_or_b64 exec, exec, s[0:1]
	v_mov_b32_e32 v0, v7
	v_lshlrev_b64 v[10:11], 21, v[0:1]
	v_xor_b32_e32 v0, v10, v6
	v_cvt_f64_u32_e32 v[6:7], v11
	v_ldexp_f64 v[6:7], v[6:7], 32
	v_cvt_f64_u32_e32 v[10:11], v0
	v_add_f64 v[6:7], v[6:7], v[10:11]
	v_mov_b32_e32 v10, 0
	v_mov_b32_e32 v11, 0x3ca00000
	v_fmac_f64_e32 v[10:11], 0x3ca00000, v[6:7]
	v_frexp_mant_f64_e32 v[84:85], v[10:11]
	v_mov_b32_e32 v5, 0x3ff00000
	v_cmp_gt_f64_e32 vcc, s[24:25], v[84:85]
	v_mov_b32_e32 v90, v1
	v_mov_b32_e32 v0, v9
	v_cndmask_b32_e64 v91, v5, 2.0, vcc
	v_mul_f64 v[84:85], v[84:85], v[90:91]
	v_add_f64 v[90:91], v[84:85], 1.0
	v_rcp_f64_e32 v[92:93], v[90:91]
	v_add_f64 v[96:97], v[90:91], -1.0
	v_add_f64 v[94:95], v[84:85], -1.0
	v_add_f64 v[84:85], v[84:85], -v[96:97]
	v_fma_f64 v[96:97], -v[90:91], v[92:93], 1.0
	v_fmac_f64_e32 v[92:93], v[96:97], v[92:93]
	v_fma_f64 v[96:97], -v[90:91], v[92:93], 1.0
	v_fmac_f64_e32 v[92:93], v[96:97], v[92:93]
	v_mul_f64 v[96:97], v[94:95], v[92:93]
	v_mul_f64 v[98:99], v[90:91], v[96:97]
	v_fma_f64 v[90:91], v[96:97], v[90:91], -v[98:99]
	v_fmac_f64_e32 v[90:91], v[96:97], v[84:85]
	v_add_f64 v[84:85], v[98:99], v[90:91]
	v_add_f64 v[100:101], v[94:95], -v[84:85]
	v_add_f64 v[98:99], v[84:85], -v[98:99]
	;; [unrolled: 1-line block ×5, first 2 shown]
	v_add_f64 v[84:85], v[90:91], v[84:85]
	v_add_f64 v[84:85], v[100:101], v[84:85]
	v_mul_f64 v[84:85], v[92:93], v[84:85]
	v_add_f64 v[90:91], v[96:97], v[84:85]
	v_add_f64 v[92:93], v[90:91], -v[96:97]
	v_add_f64 v[84:85], v[84:85], -v[92:93]
	v_mul_f64 v[92:93], v[90:91], v[90:91]
	v_mov_b64_e32 v[94:95], v[48:49]
	v_fmac_f64_e32 v[94:95], s[26:27], v[92:93]
	v_mov_b64_e32 v[96:97], v[50:51]
	v_fmac_f64_e32 v[96:97], v[92:93], v[94:95]
	;; [unrolled: 2-line block ×6, first 2 shown]
	v_ldexp_f64 v[94:95], v[90:91], 1
	v_mul_f64 v[90:91], v[90:91], v[92:93]
	v_mul_f64 v[90:91], v[90:91], v[96:97]
	v_add_f64 v[92:93], v[94:95], v[90:91]
	v_add_f64 v[94:95], v[92:93], -v[94:95]
	v_lshlrev_b64 v[6:7], 21, v[0:1]
	v_ldexp_f64 v[84:85], v[84:85], 1
	v_add_f64 v[90:91], v[90:91], -v[94:95]
	v_xor_b32_e32 v0, v6, v8
	v_add_f64 v[84:85], v[84:85], v[90:91]
	v_cvt_f64_u32_e32 v[8:9], v0
	v_frexp_exp_i32_f64_e32 v0, v[10:11]
	v_add_f64 v[90:91], v[92:93], v[84:85]
	v_subbrev_co_u32_e32 v0, vcc, 0, v0, vcc
	v_add_f64 v[92:93], v[90:91], -v[92:93]
	v_add_f64 v[84:85], v[84:85], -v[92:93]
	v_cvt_f64_i32_e32 v[92:93], v0
	v_mul_f64 v[94:95], v[92:93], s[28:29]
	v_fma_f64 v[96:97], v[92:93], s[28:29], -v[94:95]
	v_fmac_f64_e32 v[96:97], s[30:31], v[92:93]
	v_add_f64 v[92:93], v[94:95], v[96:97]
	v_add_f64 v[94:95], v[92:93], -v[94:95]
	v_add_f64 v[94:95], v[96:97], -v[94:95]
	v_add_f64 v[96:97], v[92:93], v[90:91]
	v_add_f64 v[98:99], v[96:97], -v[92:93]
	v_add_f64 v[100:101], v[96:97], -v[98:99]
	;; [unrolled: 1-line block ×4, first 2 shown]
	v_add_f64 v[90:91], v[90:91], v[92:93]
	v_add_f64 v[92:93], v[94:95], v[84:85]
	v_add_f64 v[98:99], v[92:93], -v[94:95]
	v_add_f64 v[100:101], v[92:93], -v[98:99]
	v_add_f64 v[90:91], v[92:93], v[90:91]
	v_add_f64 v[94:95], v[94:95], -v[100:101]
	v_add_f64 v[84:85], v[84:85], -v[98:99]
	v_add_f64 v[92:93], v[96:97], v[90:91]
	v_add_f64 v[84:85], v[84:85], v[94:95]
	v_add_f64 v[94:95], v[92:93], -v[96:97]
	v_add_f64 v[90:91], v[90:91], -v[94:95]
	v_add_f64 v[84:85], v[84:85], v[90:91]
	v_add_f64 v[84:85], v[92:93], v[84:85]
	v_cmp_eq_f64_e32 vcc, s[34:35], v[10:11]
	v_mov_b32_e32 v0, 0x7ff00000
	v_cvt_f64_u32_e32 v[6:7], v7
	v_cndmask_b32_e32 v85, v85, v11, vcc
	v_cndmask_b32_e32 v84, v84, v10, vcc
	v_mul_f64 v[84:85], v[84:85], -2.0
	v_cmp_neq_f64_e32 vcc, 0, v[10:11]
	v_ldexp_f64 v[6:7], v[6:7], 32
	v_add_f64 v[6:7], v[6:7], v[8:9]
	v_cndmask_b32_e32 v11, v0, v85, vcc
	v_cndmask_b32_e32 v10, 0, v84, vcc
	v_cmp_gt_f64_e32 vcc, s[36:37], v[10:11]
	v_mov_b32_e32 v8, 0
	v_mov_b32_e32 v9, 0x3cb00000
	v_cndmask_b32_e64 v0, 0, 1, vcc
	v_lshlrev_b32_e32 v0, 8, v0
	v_ldexp_f64 v[10:11], v[10:11], v0
	v_rsq_f64_e32 v[84:85], v[10:11]
	v_fmac_f64_e32 v[8:9], 0x3cb00000, v[6:7]
	v_mov_b32_e32 v0, 0xffffff80
	v_cndmask_b32_e32 v0, 0, v0, vcc
	v_mul_f64 v[6:7], v[10:11], v[84:85]
	v_mul_f64 v[84:85], v[84:85], 0.5
	v_fma_f64 v[90:91], -v[84:85], v[6:7], 0.5
	v_fmac_f64_e32 v[6:7], v[6:7], v[90:91]
	v_fma_f64 v[92:93], -v[6:7], v[6:7], v[10:11]
	v_fmac_f64_e32 v[84:85], v[84:85], v[90:91]
	v_fmac_f64_e32 v[6:7], v[92:93], v[84:85]
	v_fma_f64 v[90:91], -v[6:7], v[6:7], v[10:11]
	v_fmac_f64_e32 v[6:7], v[90:91], v[84:85]
	v_ldexp_f64 v[6:7], v[6:7], v0
	v_mov_b32_e32 v0, 0x260
	v_cmp_class_f64_e32 vcc, v[10:11], v0
	v_mov_b64_e32 v[92:93], v[62:63]
	v_cmp_gt_i64_e64 s[2:3], s[4:5], v[14:15]
	v_cndmask_b32_e32 v7, v7, v11, vcc
	v_cndmask_b32_e32 v6, v6, v10, vcc
	v_mul_f64 v[10:11], v[8:9], 0.5
	v_fract_f64_e32 v[84:85], v[10:11]
	v_add_f64 v[84:85], v[84:85], v[84:85]
	v_cmp_neq_f64_e32 vcc, s[34:35], v[10:11]
	s_nop 1
	v_cndmask_b32_e32 v0, 0, v84, vcc
	v_cndmask_b32_e32 v5, 0, v85, vcc
	v_cmp_lt_f64_e32 vcc, 1.0, v[8:9]
	s_nop 1
	v_cndmask_b32_e32 v85, v9, v5, vcc
	v_cndmask_b32_e32 v84, v8, v0, vcc
	v_add_f64 v[10:11], v[84:85], v[84:85]
	v_rndne_f64_e32 v[10:11], v[10:11]
	v_fmac_f64_e32 v[84:85], -0.5, v[10:11]
	v_cvt_i32_f64_e32 v5, v[10:11]
	v_mul_f64 v[90:91], v[84:85], v[84:85]
	v_mov_b64_e32 v[10:11], v[60:61]
	v_fmac_f64_e32 v[10:11], s[38:39], v[90:91]
	v_fmac_f64_e32 v[92:93], v[90:91], v[10:11]
	v_mov_b64_e32 v[10:11], v[64:65]
	v_fmac_f64_e32 v[10:11], v[90:91], v[92:93]
	v_mov_b64_e32 v[92:93], v[66:67]
	;; [unrolled: 2-line block ×3, first 2 shown]
	v_fmac_f64_e32 v[10:11], v[90:91], v[92:93]
	v_mul_f64 v[92:93], v[84:85], v[90:91]
	v_mul_f64 v[10:11], v[92:93], v[10:11]
	v_fmac_f64_e32 v[10:11], s[40:41], v[84:85]
	v_mov_b64_e32 v[84:85], v[70:71]
	v_fmac_f64_e32 v[84:85], s[42:43], v[90:91]
	v_mov_b64_e32 v[92:93], v[72:73]
	;; [unrolled: 2-line block ×6, first 2 shown]
	v_fmac_f64_e32 v[92:93], v[90:91], v[84:85]
	v_lshlrev_b32_e32 v0, 30, v5
	v_and_b32_e32 v5, 1, v5
	v_fma_f64 v[84:85], v[90:91], v[92:93], 1.0
	v_cmp_eq_u32_e64 s[0:1], 0, v5
	v_cmp_lg_f64_e32 vcc, s[34:35], v[8:9]
	s_and_saveexec_b64 s[44:45], s[2:3]
	s_cbranch_execz .LBB4_20
; %bb.19:                               ;   in Loop: Header=BB4_8 Depth=1
	v_xor_b32_e32 v9, v0, v9
	v_cndmask_b32_e64 v8, v85, v11, s[0:1]
	v_and_b32_e32 v9, 0x80000000, v9
	v_cndmask_b32_e64 v5, v84, v10, s[0:1]
	v_xor_b32_e32 v9, v8, v9
	v_cndmask_b32_e32 v8, 0, v5, vcc
	v_cndmask_b32_e32 v9, v31, v9, vcc
	v_mul_f64 v[8:9], v[6:7], v[8:9]
	v_cvt_f32_f64_e32 v5, v[8:9]
	v_mov_b32_e32 v8, s9
	v_fma_f32 v5, s10, v5, v8
	v_mul_f32_e32 v8, 0x3fb8aa3b, v5
	v_fma_f32 v9, v5, s46, -v8
	v_rndne_f32_e32 v39, v8
	v_fmac_f32_e32 v9, 0x32a5705f, v5
	v_sub_f32_e32 v8, v8, v39
	v_add_f32_e32 v8, v8, v9
	v_exp_f32_e32 v41, v8
	v_cvt_i32_f32_e32 v39, v39
	v_add_u32_e32 v8, s49, v23
	v_cmp_ngt_f32_e64 s[2:3], s8, v5
	v_ashrrev_i32_e32 v9, 31, v8
	v_ldexp_f32 v39, v41, v39
	v_cndmask_b32_e64 v39, 0, v39, s[2:3]
	v_cmp_nlt_f32_e64 s[2:3], s48, v5
	v_lshl_add_u64 v[8:9], s[16:17], 0, v[8:9]
	s_nop 0
	v_cndmask_b32_e64 v5, v33, v39, s[2:3]
	global_store_dword v[8:9], v5, off
.LBB4_20:                               ;   in Loop: Header=BB4_8 Depth=1
	s_or_b64 exec, exec, s[44:45]
	v_lshl_add_u64 v[8:9], s[6:7], 0, v[14:15]
	v_cmp_gt_i64_e64 s[2:3], s[4:5], v[8:9]
	s_and_saveexec_b64 s[44:45], s[2:3]
	s_cbranch_execz .LBB4_22
; %bb.21:                               ;   in Loop: Header=BB4_8 Depth=1
	v_xor_b32_e32 v5, 0x80000000, v11
	v_and_b32_e32 v0, 0x80000000, v0
	v_cndmask_b32_e64 v5, v5, v85, s[0:1]
	v_cndmask_b32_e64 v8, v10, v84, s[0:1]
	v_xor_b32_e32 v0, v5, v0
	v_cndmask_b32_e32 v9, v31, v0, vcc
	v_cndmask_b32_e32 v8, 0, v8, vcc
	v_mul_f64 v[6:7], v[6:7], v[8:9]
	v_cvt_f32_f64_e32 v0, v[6:7]
	v_mov_b32_e32 v5, s9
	v_fma_f32 v0, s10, v0, v5
	v_mul_f32_e32 v5, 0x3fb8aa3b, v0
	v_fma_f32 v6, v0, s46, -v5
	v_rndne_f32_e32 v7, v5
	v_fmac_f32_e32 v6, 0x32a5705f, v0
	v_sub_f32_e32 v5, v5, v7
	v_add_f32_e32 v5, v5, v6
	v_exp_f32_e32 v5, v5
	v_cvt_i32_f32_e32 v8, v7
	v_add_u32_e32 v6, s49, v29
	v_cmp_ngt_f32_e32 vcc, s8, v0
	v_ashrrev_i32_e32 v7, 31, v6
	v_ldexp_f32 v5, v5, v8
	v_cndmask_b32_e32 v5, 0, v5, vcc
	v_cmp_nlt_f32_e32 vcc, s48, v0
	v_lshl_add_u64 v[6:7], s[16:17], 0, v[6:7]
	s_nop 0
	v_cndmask_b32_e32 v0, v33, v5, vcc
	global_store_dword v[6:7], v0, off
.LBB4_22:                               ;   in Loop: Header=BB4_8 Depth=1
	s_or_b64 exec, exec, s[44:45]
	v_lshl_add_u64 v[6:7], s[18:19], 0, v[14:15]
	v_cmp_gt_i64_e32 vcc, s[4:5], v[6:7]
	s_and_saveexec_b64 s[0:1], vcc
	s_cbranch_execz .LBB4_24
; %bb.23:                               ;   in Loop: Header=BB4_8 Depth=1
	v_add_u32_e32 v6, s49, v27
	v_ashrrev_i32_e32 v7, 31, v6
	v_lshl_add_u64 v[6:7], s[16:17], 0, v[6:7]
	global_store_dword v[6:7], v21, off
.LBB4_24:                               ;   in Loop: Header=BB4_8 Depth=1
	s_or_b64 exec, exec, s[0:1]
	v_lshl_add_u64 v[6:7], s[20:21], 0, v[14:15]
	v_cmp_gt_i64_e32 vcc, s[4:5], v[6:7]
	s_and_saveexec_b64 s[0:1], vcc
	s_cbranch_execz .LBB4_7
; %bb.25:                               ;   in Loop: Header=BB4_8 Depth=1
	v_add_u32_e32 v6, s49, v25
	v_ashrrev_i32_e32 v7, 31, v6
	v_lshl_add_u64 v[6:7], s[16:17], 0, v[6:7]
	global_store_dword v[6:7], v21, off
	s_branch .LBB4_7
.LBB4_26:
	s_endpgm
.LBB4_27:
                                        ; implicit-def: $sgpr10_sgpr11
	s_andn2_b64 vcc, exec, s[8:9]
	s_cbranch_vccz .LBB4_4
	s_branch .LBB4_5
	.section	.rodata,"a",@progbits
	.p2align	6, 0x0
	.amdhsa_kernel _ZN2at6native12_GLOBAL__N_143distribution_elementwise_grid_stride_kernelIfLi4EZNS0_9templates4cuda20normal_and_transformIffPNS_17CUDAGeneratorImplEZZZNS4_17log_normal_kernelIS7_EEvRNS_18TensorIteratorBaseEddT_ENKUlvE_clEvENKUlvE0_clEvEUlfE_EEvSA_T1_T2_EUlP25hiprandStatePhilox4_32_10E_ZNS1_27distribution_nullary_kernelIff15HIP_vector_typeIdLj2EES7_SJ_SE_EEvSA_SG_RKT3_T4_EUlifE_EEvlNS_15PhiloxCudaStateESF_SG_
		.amdhsa_group_segment_fixed_size 0
		.amdhsa_private_segment_fixed_size 0
		.amdhsa_kernarg_size 328
		.amdhsa_user_sgpr_count 2
		.amdhsa_user_sgpr_dispatch_ptr 0
		.amdhsa_user_sgpr_queue_ptr 0
		.amdhsa_user_sgpr_kernarg_segment_ptr 1
		.amdhsa_user_sgpr_dispatch_id 0
		.amdhsa_user_sgpr_kernarg_preload_length 0
		.amdhsa_user_sgpr_kernarg_preload_offset 0
		.amdhsa_user_sgpr_private_segment_size 0
		.amdhsa_uses_dynamic_stack 0
		.amdhsa_enable_private_segment 0
		.amdhsa_system_sgpr_workgroup_id_x 1
		.amdhsa_system_sgpr_workgroup_id_y 0
		.amdhsa_system_sgpr_workgroup_id_z 0
		.amdhsa_system_sgpr_workgroup_info 0
		.amdhsa_system_vgpr_workitem_id 0
		.amdhsa_next_free_vgpr 102
		.amdhsa_next_free_sgpr 50
		.amdhsa_accum_offset 104
		.amdhsa_reserve_vcc 1
		.amdhsa_float_round_mode_32 0
		.amdhsa_float_round_mode_16_64 0
		.amdhsa_float_denorm_mode_32 3
		.amdhsa_float_denorm_mode_16_64 3
		.amdhsa_dx10_clamp 1
		.amdhsa_ieee_mode 1
		.amdhsa_fp16_overflow 0
		.amdhsa_tg_split 0
		.amdhsa_exception_fp_ieee_invalid_op 0
		.amdhsa_exception_fp_denorm_src 0
		.amdhsa_exception_fp_ieee_div_zero 0
		.amdhsa_exception_fp_ieee_overflow 0
		.amdhsa_exception_fp_ieee_underflow 0
		.amdhsa_exception_fp_ieee_inexact 0
		.amdhsa_exception_int_div_zero 0
	.end_amdhsa_kernel
	.section	.text._ZN2at6native12_GLOBAL__N_143distribution_elementwise_grid_stride_kernelIfLi4EZNS0_9templates4cuda20normal_and_transformIffPNS_17CUDAGeneratorImplEZZZNS4_17log_normal_kernelIS7_EEvRNS_18TensorIteratorBaseEddT_ENKUlvE_clEvENKUlvE0_clEvEUlfE_EEvSA_T1_T2_EUlP25hiprandStatePhilox4_32_10E_ZNS1_27distribution_nullary_kernelIff15HIP_vector_typeIdLj2EES7_SJ_SE_EEvSA_SG_RKT3_T4_EUlifE_EEvlNS_15PhiloxCudaStateESF_SG_,"axG",@progbits,_ZN2at6native12_GLOBAL__N_143distribution_elementwise_grid_stride_kernelIfLi4EZNS0_9templates4cuda20normal_and_transformIffPNS_17CUDAGeneratorImplEZZZNS4_17log_normal_kernelIS7_EEvRNS_18TensorIteratorBaseEddT_ENKUlvE_clEvENKUlvE0_clEvEUlfE_EEvSA_T1_T2_EUlP25hiprandStatePhilox4_32_10E_ZNS1_27distribution_nullary_kernelIff15HIP_vector_typeIdLj2EES7_SJ_SE_EEvSA_SG_RKT3_T4_EUlifE_EEvlNS_15PhiloxCudaStateESF_SG_,comdat
.Lfunc_end4:
	.size	_ZN2at6native12_GLOBAL__N_143distribution_elementwise_grid_stride_kernelIfLi4EZNS0_9templates4cuda20normal_and_transformIffPNS_17CUDAGeneratorImplEZZZNS4_17log_normal_kernelIS7_EEvRNS_18TensorIteratorBaseEddT_ENKUlvE_clEvENKUlvE0_clEvEUlfE_EEvSA_T1_T2_EUlP25hiprandStatePhilox4_32_10E_ZNS1_27distribution_nullary_kernelIff15HIP_vector_typeIdLj2EES7_SJ_SE_EEvSA_SG_RKT3_T4_EUlifE_EEvlNS_15PhiloxCudaStateESF_SG_, .Lfunc_end4-_ZN2at6native12_GLOBAL__N_143distribution_elementwise_grid_stride_kernelIfLi4EZNS0_9templates4cuda20normal_and_transformIffPNS_17CUDAGeneratorImplEZZZNS4_17log_normal_kernelIS7_EEvRNS_18TensorIteratorBaseEddT_ENKUlvE_clEvENKUlvE0_clEvEUlfE_EEvSA_T1_T2_EUlP25hiprandStatePhilox4_32_10E_ZNS1_27distribution_nullary_kernelIff15HIP_vector_typeIdLj2EES7_SJ_SE_EEvSA_SG_RKT3_T4_EUlifE_EEvlNS_15PhiloxCudaStateESF_SG_
                                        ; -- End function
	.section	.AMDGPU.csdata,"",@progbits
; Kernel info:
; codeLenInByte = 4236
; NumSgprs: 56
; NumVgprs: 102
; NumAgprs: 0
; TotalNumVgprs: 102
; ScratchSize: 0
; MemoryBound: 0
; FloatMode: 240
; IeeeMode: 1
; LDSByteSize: 0 bytes/workgroup (compile time only)
; SGPRBlocks: 6
; VGPRBlocks: 12
; NumSGPRsForWavesPerEU: 56
; NumVGPRsForWavesPerEU: 102
; AccumOffset: 104
; Occupancy: 4
; WaveLimiterHint : 0
; COMPUTE_PGM_RSRC2:SCRATCH_EN: 0
; COMPUTE_PGM_RSRC2:USER_SGPR: 2
; COMPUTE_PGM_RSRC2:TRAP_HANDLER: 0
; COMPUTE_PGM_RSRC2:TGID_X_EN: 1
; COMPUTE_PGM_RSRC2:TGID_Y_EN: 0
; COMPUTE_PGM_RSRC2:TGID_Z_EN: 0
; COMPUTE_PGM_RSRC2:TIDIG_COMP_CNT: 0
; COMPUTE_PGM_RSRC3_GFX90A:ACCUM_OFFSET: 25
; COMPUTE_PGM_RSRC3_GFX90A:TG_SPLIT: 0
	.section	.text._ZN2at6native12_GLOBAL__N_143distribution_elementwise_grid_stride_kernelIfLi4EZNS0_9templates4cuda20normal_and_transformIffPNS_17CUDAGeneratorImplEZZZNS4_17log_normal_kernelIS7_EEvRNS_18TensorIteratorBaseEddT_ENKUlvE_clEvENKUlvE0_clEvEUlfE_EEvSA_T1_T2_EUlP25hiprandStatePhilox4_32_10E_ZNS1_27distribution_nullary_kernelIff15HIP_vector_typeIdLj2EES7_SJ_SE_EEvSA_SG_RKT3_T4_EUlifE0_EEvlNS_15PhiloxCudaStateESF_SG_,"axG",@progbits,_ZN2at6native12_GLOBAL__N_143distribution_elementwise_grid_stride_kernelIfLi4EZNS0_9templates4cuda20normal_and_transformIffPNS_17CUDAGeneratorImplEZZZNS4_17log_normal_kernelIS7_EEvRNS_18TensorIteratorBaseEddT_ENKUlvE_clEvENKUlvE0_clEvEUlfE_EEvSA_T1_T2_EUlP25hiprandStatePhilox4_32_10E_ZNS1_27distribution_nullary_kernelIff15HIP_vector_typeIdLj2EES7_SJ_SE_EEvSA_SG_RKT3_T4_EUlifE0_EEvlNS_15PhiloxCudaStateESF_SG_,comdat
	.globl	_ZN2at6native12_GLOBAL__N_143distribution_elementwise_grid_stride_kernelIfLi4EZNS0_9templates4cuda20normal_and_transformIffPNS_17CUDAGeneratorImplEZZZNS4_17log_normal_kernelIS7_EEvRNS_18TensorIteratorBaseEddT_ENKUlvE_clEvENKUlvE0_clEvEUlfE_EEvSA_T1_T2_EUlP25hiprandStatePhilox4_32_10E_ZNS1_27distribution_nullary_kernelIff15HIP_vector_typeIdLj2EES7_SJ_SE_EEvSA_SG_RKT3_T4_EUlifE0_EEvlNS_15PhiloxCudaStateESF_SG_ ; -- Begin function _ZN2at6native12_GLOBAL__N_143distribution_elementwise_grid_stride_kernelIfLi4EZNS0_9templates4cuda20normal_and_transformIffPNS_17CUDAGeneratorImplEZZZNS4_17log_normal_kernelIS7_EEvRNS_18TensorIteratorBaseEddT_ENKUlvE_clEvENKUlvE0_clEvEUlfE_EEvSA_T1_T2_EUlP25hiprandStatePhilox4_32_10E_ZNS1_27distribution_nullary_kernelIff15HIP_vector_typeIdLj2EES7_SJ_SE_EEvSA_SG_RKT3_T4_EUlifE0_EEvlNS_15PhiloxCudaStateESF_SG_
	.p2align	8
	.type	_ZN2at6native12_GLOBAL__N_143distribution_elementwise_grid_stride_kernelIfLi4EZNS0_9templates4cuda20normal_and_transformIffPNS_17CUDAGeneratorImplEZZZNS4_17log_normal_kernelIS7_EEvRNS_18TensorIteratorBaseEddT_ENKUlvE_clEvENKUlvE0_clEvEUlfE_EEvSA_T1_T2_EUlP25hiprandStatePhilox4_32_10E_ZNS1_27distribution_nullary_kernelIff15HIP_vector_typeIdLj2EES7_SJ_SE_EEvSA_SG_RKT3_T4_EUlifE0_EEvlNS_15PhiloxCudaStateESF_SG_,@function
_ZN2at6native12_GLOBAL__N_143distribution_elementwise_grid_stride_kernelIfLi4EZNS0_9templates4cuda20normal_and_transformIffPNS_17CUDAGeneratorImplEZZZNS4_17log_normal_kernelIS7_EEvRNS_18TensorIteratorBaseEddT_ENKUlvE_clEvENKUlvE0_clEvEUlfE_EEvSA_T1_T2_EUlP25hiprandStatePhilox4_32_10E_ZNS1_27distribution_nullary_kernelIff15HIP_vector_typeIdLj2EES7_SJ_SE_EEvSA_SG_RKT3_T4_EUlifE0_EEvlNS_15PhiloxCudaStateESF_SG_: ; @_ZN2at6native12_GLOBAL__N_143distribution_elementwise_grid_stride_kernelIfLi4EZNS0_9templates4cuda20normal_and_transformIffPNS_17CUDAGeneratorImplEZZZNS4_17log_normal_kernelIS7_EEvRNS_18TensorIteratorBaseEddT_ENKUlvE_clEvENKUlvE0_clEvEUlfE_EEvSA_T1_T2_EUlP25hiprandStatePhilox4_32_10E_ZNS1_27distribution_nullary_kernelIff15HIP_vector_typeIdLj2EES7_SJ_SE_EEvSA_SG_RKT3_T4_EUlifE0_EEvlNS_15PhiloxCudaStateESF_SG_
; %bb.0:
	s_load_dword s3, s[0:1], 0x20
	s_load_dwordx2 s[4:5], s[0:1], 0x10
	s_load_dwordx4 s[24:27], s[0:1], 0x0
	s_mov_b32 s35, 0
	s_waitcnt lgkmcnt(0)
	s_bitcmp0_b32 s3, 0
	v_mov_b64_e32 v[2:3], s[4:5]
	v_mov_b64_e32 v[12:13], s[26:27]
	s_cbranch_scc1 .LBB5_2
; %bb.1:
	v_mov_b64_e32 v[4:5], s[4:5]
	v_mov_b64_e32 v[2:3], s[26:27]
	flat_load_dwordx2 v[6:7], v[4:5]
	flat_load_dwordx2 v[12:13], v[2:3]
	s_load_dwordx2 s[4:5], s[0:1], 0x18
	s_waitcnt vmcnt(0) lgkmcnt(0)
	v_lshl_add_u64 v[2:3], v[6:7], 0, s[4:5]
.LBB5_2:
	s_load_dword s4, s[0:1], 0x154
	s_load_dword s3, s[0:1], 0x148
	s_mov_b32 s6, s35
	s_waitcnt lgkmcnt(0)
	s_and_b32 s8, s4, 0xffff
	s_add_u32 s9, s24, -1
	s_mul_i32 s26, s3, s8
	s_addc_u32 s7, s25, -1
	s_lshl_b32 s34, s26, 2
	s_cmp_lg_u64 s[6:7], 0
	s_mov_b64 s[4:5], -1
	s_cbranch_scc0 .LBB5_83
; %bb.3:
	v_cvt_f32_u32_e32 v1, s34
	v_cvt_f32_ubyte0_e32 v4, 0
	s_sub_u32 s6, 0, s34
	s_subb_u32 s10, 0, 0
	v_fmamk_f32 v1, v4, 0x4f800000, v1
	v_rcp_f32_e32 v1, v1
	s_nop 0
	v_mul_f32_e32 v1, 0x5f7ffffc, v1
	v_mul_f32_e32 v4, 0x2f800000, v1
	v_trunc_f32_e32 v4, v4
	v_fmamk_f32 v1, v4, 0xcf800000, v1
	v_cvt_u32_f32_e32 v4, v4
	v_cvt_u32_f32_e32 v1, v1
	v_readfirstlane_b32 s11, v4
	v_readfirstlane_b32 s12, v1
	s_mul_i32 s13, s6, s11
	s_mul_hi_u32 s15, s6, s12
	s_mul_i32 s14, s10, s12
	s_add_i32 s13, s15, s13
	s_add_i32 s13, s13, s14
	s_mul_i32 s16, s6, s12
	s_mul_hi_u32 s14, s12, s13
	s_mul_i32 s15, s12, s13
	s_mul_hi_u32 s12, s12, s16
	s_add_u32 s12, s12, s15
	s_addc_u32 s14, 0, s14
	s_mul_hi_u32 s17, s11, s16
	s_mul_i32 s16, s11, s16
	s_add_u32 s12, s12, s16
	s_mul_hi_u32 s15, s11, s13
	s_addc_u32 s12, s14, s17
	s_addc_u32 s14, s15, 0
	s_mul_i32 s13, s11, s13
	s_add_u32 s12, s12, s13
	s_addc_u32 s13, 0, s14
	v_add_co_u32_e32 v1, vcc, s12, v1
	s_cmp_lg_u64 vcc, 0
	s_addc_u32 s11, s11, s13
	v_readfirstlane_b32 s13, v1
	s_mul_i32 s12, s6, s11
	s_mul_hi_u32 s14, s6, s13
	s_add_i32 s12, s14, s12
	s_mul_i32 s10, s10, s13
	s_add_i32 s12, s12, s10
	s_mul_i32 s6, s6, s13
	s_mul_hi_u32 s14, s11, s6
	s_mul_i32 s15, s11, s6
	s_mul_i32 s17, s13, s12
	s_mul_hi_u32 s6, s13, s6
	s_mul_hi_u32 s16, s13, s12
	s_add_u32 s6, s6, s17
	s_addc_u32 s13, 0, s16
	s_add_u32 s6, s6, s15
	s_mul_hi_u32 s10, s11, s12
	s_addc_u32 s6, s13, s14
	s_addc_u32 s10, s10, 0
	s_mul_i32 s12, s11, s12
	s_add_u32 s6, s6, s12
	s_addc_u32 s10, 0, s10
	v_add_co_u32_e32 v1, vcc, s6, v1
	s_cmp_lg_u64 vcc, 0
	s_addc_u32 s12, s11, s10
	s_ashr_i32 s10, s7, 31
	s_add_u32 s6, s9, s10
	s_mov_b32 s11, s10
	s_addc_u32 s7, s7, s10
	s_xor_b64 s[6:7], s[6:7], s[10:11]
	v_readfirstlane_b32 s15, v1
	s_mul_i32 s14, s6, s12
	s_mul_hi_u32 s16, s6, s15
	s_mul_hi_u32 s13, s6, s12
	s_add_u32 s14, s16, s14
	s_addc_u32 s13, 0, s13
	s_mul_hi_u32 s17, s7, s15
	s_mul_i32 s15, s7, s15
	s_add_u32 s14, s14, s15
	s_mul_hi_u32 s16, s7, s12
	s_addc_u32 s13, s13, s17
	s_addc_u32 s14, s16, 0
	s_mul_i32 s12, s7, s12
	s_add_u32 s12, s13, s12
	s_addc_u32 s13, 0, s14
	s_add_u32 s14, s12, 1
	s_addc_u32 s15, s13, 0
	s_add_u32 s16, s12, 2
	s_mul_i32 s18, s34, s13
	s_mul_hi_u32 s19, s34, s12
	s_addc_u32 s17, s13, 0
	s_add_i32 s19, s19, s18
	s_mul_i32 s18, s34, s12
	v_mov_b32_e32 v1, s18
	v_sub_co_u32_e32 v1, vcc, s6, v1
	s_cmp_lg_u64 vcc, 0
	s_subb_u32 s6, s7, s19
	v_subrev_co_u32_e32 v4, vcc, s34, v1
	s_cmp_lg_u64 vcc, 0
	s_subb_u32 s7, s6, 0
	v_readfirstlane_b32 s18, v4
	s_cmp_ge_u32 s18, s34
	s_cselect_b32 s18, -1, 0
	s_cmp_eq_u32 s7, 0
	s_cselect_b32 s7, s18, -1
	s_cmp_lg_u32 s7, 0
	s_cselect_b32 s7, s17, s15
	v_readfirstlane_b32 s15, v1
	s_cselect_b32 s14, s16, s14
	s_cmp_ge_u32 s15, s34
	s_cselect_b32 s15, -1, 0
	s_cmp_eq_u32 s6, 0
	s_cselect_b32 s6, s15, -1
	s_cmp_lg_u32 s6, 0
	s_cselect_b32 s7, s7, s13
	s_cselect_b32 s6, s14, s12
	s_xor_b64 s[6:7], s[6:7], s[10:11]
	s_sub_u32 s6, s6, s10
	s_subb_u32 s7, s7, s10
	s_cbranch_execnz .LBB5_5
.LBB5_4:
	v_cvt_f32_u32_e32 v1, s34
	s_sub_i32 s4, 0, s34
	s_mov_b32 s7, 0
	v_rcp_iflag_f32_e32 v1, v1
	s_nop 0
	v_mul_f32_e32 v1, 0x4f7ffffe, v1
	v_cvt_u32_f32_e32 v1, v1
	s_nop 0
	v_readfirstlane_b32 s5, v1
	s_mul_i32 s4, s4, s5
	s_mul_hi_u32 s4, s5, s4
	s_add_i32 s5, s5, s4
	s_mul_hi_u32 s4, s9, s5
	s_mul_i32 s6, s4, s34
	s_sub_i32 s6, s9, s6
	s_add_i32 s5, s4, 1
	s_sub_i32 s9, s6, s34
	s_cmp_ge_u32 s6, s34
	s_cselect_b32 s4, s5, s4
	s_cselect_b32 s6, s9, s6
	s_add_i32 s5, s4, 1
	s_cmp_ge_u32 s6, s34
	s_cselect_b32 s6, s5, s4
.LBB5_5:
	v_mov_b32_e32 v1, 0
	v_mov_b32_e32 v4, s2
	v_mad_u64_u32 v[14:15], s[4:5], s8, v4, v[0:1]
	s_add_u32 s2, s6, 1
	s_addc_u32 s4, s7, 0
	s_mul_hi_u32 s3, s3, s8
	s_mul_i32 s4, s26, s4
	s_mul_hi_u32 s5, s26, s2
	s_add_i32 s4, s5, s4
	s_mul_i32 s3, s3, s2
	s_add_i32 s3, s4, s3
	s_mul_i32 s2, s26, s2
	s_lshl_b64 s[44:45], s[2:3], 2
	v_cmp_gt_i64_e32 vcc, s[44:45], v[14:15]
	s_and_saveexec_b64 s[2:3], vcc
	s_cbranch_execz .LBB5_82
; %bb.6:
	v_mov_b32_e32 v0, v13
	s_mov_b64 s[2:3], 0xdb3d7428
	v_lshl_add_u64 v[16:17], v[0:1], 0, s[2:3]
	s_mov_b64 s[2:3], 0x5384540f
	v_lshl_add_u64 v[18:19], v[12:13], 0, s[2:3]
	;; [unrolled: 2-line block ×7, first 2 shown]
	s_mov_b64 s[2:3], 0x9e3779b9
	v_alignbit_b32 v17, v3, v2, 2
	s_mov_b32 s33, 0xd2511f53
	v_lshl_add_u64 v[30:31], v[12:13], 0, s[2:3]
	v_mad_u64_u32 v[4:5], s[2:3], v17, s33, 0
	v_and_b32_e32 v88, 3, v2
	v_xor_b32_e32 v2, v5, v13
	v_xor_b32_e32 v2, v2, v15
	s_mov_b32 s90, 0xcd9e8d57
	v_mad_u64_u32 v[6:7], s[2:3], v2, s90, 0
	v_xor_b32_e32 v2, v30, v7
	v_mad_u64_u32 v[8:9], s[2:3], v14, s90, 0
	v_xor_b32_e32 v2, v2, v8
	;; [unrolled: 2-line block ×3, first 2 shown]
	v_lshrrev_b32_e32 v19, 2, v3
	v_xor_b32_e32 v2, v2, v19
	v_xor_b32_e32 v5, v28, v11
	v_mad_u64_u32 v[2:3], s[2:3], v2, s33, 0
	v_xor_b32_e32 v2, v5, v2
	v_mad_u64_u32 v[8:9], s[2:3], v2, s90, 0
	s_mov_b64 s[2:3], 0xbb67ae85
	s_nop 0
	v_lshl_add_u64 v[32:33], v[0:1], 0, s[2:3]
	v_xor_b32_e32 v2, v32, v3
	v_xor_b32_e32 v2, v2, v4
	v_xor_b32_e32 v5, v26, v9
	v_mad_u64_u32 v[2:3], s[2:3], v2, s90, 0
	v_xor_b32_e32 v2, v5, v2
	v_mad_u64_u32 v[4:5], s[2:3], v2, s33, 0
	s_mov_b64 s[2:3], 0x3c6ef372
	s_nop 0
	v_lshl_add_u64 v[34:35], v[12:13], 0, s[2:3]
	v_xor_b32_e32 v2, v34, v3
	;; [unrolled: 9-line block ×7, first 2 shown]
	v_xor_b32_e32 v0, v0, v10
	v_mad_u64_u32 v[2:3], s[2:3], v0, s90, 0
	s_mov_b64 s[2:3], 0xf1bbcdc8
	s_load_dwordx8 s[8:15], s[0:1], 0x30
	v_add_u32_e32 v89, 0x8ff34781, v12
	v_xor_b32_e32 v0, v49, v2
	v_lshl_add_u64 v[46:47], v[12:13], 0, s[2:3]
	v_xor_b32_e32 v6, v89, v0
	v_xor_b32_e32 v0, v46, v3
	;; [unrolled: 1-line block ×3, first 2 shown]
	s_add_u32 s46, s0, 48
	v_mad_u64_u32 v[2:3], s[2:3], v0, s33, 0
	s_addc_u32 s47, s1, 0
	s_waitcnt lgkmcnt(0)
	s_add_i32 s2, s8, -1
	v_add_u32_e32 v90, 0x96a522ad, v13
	v_xor_b32_e32 v0, v3, v4
	s_cmp_gt_u32 s2, 1
	v_xor_b32_e32 v8, v90, v0
	v_mov_b32_e32 v9, v2
	s_cselect_b64 s[48:49], -1, 0
	s_cmp_lg_u32 s8, 0
	v_mov_b32_e32 v0, 0xffc00000
	v_mov_b32_e32 v2, 0x3fb8aa3b
	s_cselect_b64 s[50:51], -1, 0
	s_add_u32 s52, s0, 0xf4
	v_fmac_f32_e32 v0, s0, v2
	v_mov_b32_e32 v2, 0x32a5705f
	s_addc_u32 s53, s1, 0
	s_min_u32 s3, s2, 15
	v_fmac_f32_e32 v0, s0, v2
	v_rndne_f32_e32 v2, 0x7fc00000
	s_cmp_gt_u32 s8, 1
	v_sub_f32_e32 v3, 0x7fc00000, v2
	s_cselect_b64 s[54:55], -1, 0
	v_add_f32_e32 v0, v3, v0
	s_add_i32 s3, s3, 1
	s_load_dwordx2 s[56:57], s[0:1], 0xf4
	s_load_dwordx4 s[28:31], s[0:1], 0x138
	v_exp_f32_e32 v0, v0
	v_cvt_i32_f32_e32 v2, v2
	s_lshl_b32 s58, s26, 1
	s_and_b32 s15, s3, 3
	s_cmp_lg_u32 s2, 2
	s_cselect_b64 s[62:63], -1, 0
	s_and_b32 s91, s3, 28
	s_mov_b32 s27, 0
	s_cmp_lg_u32 s15, 0
	s_mov_b32 s68, 0x55555555
	s_mov_b32 s70, 0xbf559e2b
	;; [unrolled: 1-line block ×9, first 2 shown]
	v_mov_b32_e32 v7, v48
	s_mov_b32 s8, s13
	s_mov_b32 s59, s27
	;; [unrolled: 1-line block ×3, first 2 shown]
	v_ldexp_f32 v21, v0, v2
	s_mul_i32 s60, s26, 3
	s_mov_b32 s61, s27
	s_mov_b64 s[64:65], 0
	s_cselect_b64 s[66:67], -1, 0
	s_mov_b32 s69, 0x3fe55555
	s_mov_b32 s71, 0x3fc3ab76
	;; [unrolled: 1-line block ×5, first 2 shown]
	s_brev_b32 s79, 8
	s_mov_b32 s81, 0x3f3e357e
	s_mov_b32 s83, 0x400921fb
	;; [unrolled: 1-line block ×5, first 2 shown]
	v_mov_b32_e32 v48, 0x6b47b09a
	v_mov_b32_e32 v49, 0x3fc38538
	;; [unrolled: 1-line block ×41, first 2 shown]
	s_branch .LBB5_9
.LBB5_7:                                ;   in Loop: Header=BB5_9 Depth=1
	s_waitcnt lgkmcnt(0)
	global_store_dword v8, v21, s[28:29]
.LBB5_8:                                ;   in Loop: Header=BB5_9 Depth=1
	s_or_b64 exec, exec, s[36:37]
	v_mov_b32_e32 v5, v82
	v_lshl_add_u64 v[14:15], v[14:15], 0, s[34:35]
	v_cmp_le_i64_e32 vcc, s[44:45], v[14:15]
	v_mov_b64_e32 v[8:9], v[4:5]
	s_or_b64 s[64:65], vcc, s[64:65]
	v_mov_b64_e32 v[6:7], v[2:3]
	s_waitcnt lgkmcnt(0)
	s_barrier
	s_andn2_b64 exec, exec, s[64:65]
	s_cbranch_execz .LBB5_82
.LBB5_9:                                ; =>This Loop Header: Depth=1
                                        ;     Child Loop BB5_24 Depth 2
                                        ;     Child Loop BB5_30 Depth 2
	;; [unrolled: 1-line block ×8, first 2 shown]
	v_add_co_u32_e32 v17, vcc, 1, v17
	v_mad_u64_u32 v[2:3], s[0:1], v17, s33, 0
	s_nop 0
	v_cndmask_b32_e64 v0, 0, 1, vcc
	v_addc_co_u32_e32 v19, vcc, 0, v19, vcc
	v_cmp_eq_u32_e32 vcc, 0, v19
	v_xor_b32_e32 v3, v3, v13
	s_nop 0
	v_cndmask_b32_e32 v0, 0, v0, vcc
	v_add_u32_e32 v33, v0, v33
	v_cmp_eq_u32_e32 vcc, 0, v33
	v_mad_u64_u32 v[4:5], s[0:1], v33, s90, 0
	s_nop 0
	v_cndmask_b32_e32 v0, 0, v0, vcc
	v_add_u32_e32 v35, v0, v35
	v_xor_b32_e32 v0, v5, v12
	v_xor_b32_e32 v0, v19, v0
	v_xor_b32_e32 v3, v35, v3
	v_mad_u64_u32 v[10:11], s[0:1], v0, s33, 0
	v_mad_u64_u32 v[82:83], s[0:1], v3, s90, 0
	v_xor_b32_e32 v0, v30, v83
	v_xor_b32_e32 v3, v32, v11
	v_xor_b32_e32 v0, v0, v4
	v_xor_b32_e32 v4, v3, v2
	v_mad_u64_u32 v[2:3], s[0:1], v0, s33, 0
	v_mad_u64_u32 v[4:5], s[0:1], v4, s90, 0
	v_xor_b32_e32 v0, v34, v5
	;; [unrolled: 6-line block ×9, first 2 shown]
	v_xor_b32_e32 v2, v89, v0
	v_xor_b32_e32 v0, v83, v4
	;; [unrolled: 1-line block ×3, first 2 shown]
	v_mov_b32_e32 v3, v10
	v_mov_b32_e32 v4, v11
	v_cmp_lt_i32_e32 vcc, 1, v88
	s_and_saveexec_b64 s[0:1], vcc
	s_xor_b64 s[0:1], exec, s[0:1]
	s_cbranch_execz .LBB5_15
; %bb.10:                               ;   in Loop: Header=BB5_9 Depth=1
	v_cmp_lt_i32_e32 vcc, 2, v88
	s_and_saveexec_b64 s[2:3], vcc
	s_xor_b64 s[2:3], exec, s[2:3]
; %bb.11:                               ;   in Loop: Header=BB5_9 Depth=1
	v_mov_b32_e32 v8, v9
	v_mov_b32_e32 v9, v2
	v_mov_b64_e32 v[6:7], v[8:9]
	v_mov_b64_e32 v[8:9], v[10:11]
                                        ; implicit-def: $vgpr10_vgpr11
; %bb.12:                               ;   in Loop: Header=BB5_9 Depth=1
	s_andn2_saveexec_b64 s[2:3], s[2:3]
; %bb.13:                               ;   in Loop: Header=BB5_9 Depth=1
	v_mov_b32_e32 v6, v8
	v_mov_b32_e32 v7, v9
	;; [unrolled: 1-line block ×4, first 2 shown]
; %bb.14:                               ;   in Loop: Header=BB5_9 Depth=1
	s_or_b64 exec, exec, s[2:3]
.LBB5_15:                               ;   in Loop: Header=BB5_9 Depth=1
	s_andn2_saveexec_b64 s[0:1], s[0:1]
	s_cbranch_execz .LBB5_19
; %bb.16:                               ;   in Loop: Header=BB5_9 Depth=1
	v_cmp_eq_u32_e32 vcc, 1, v88
	s_and_saveexec_b64 s[2:3], vcc
; %bb.17:                               ;   in Loop: Header=BB5_9 Depth=1
	v_mov_b32_e32 v6, v7
	v_mov_b32_e32 v7, v8
	;; [unrolled: 1-line block ×4, first 2 shown]
; %bb.18:                               ;   in Loop: Header=BB5_9 Depth=1
	s_or_b64 exec, exec, s[2:3]
.LBB5_19:                               ;   in Loop: Header=BB5_9 Depth=1
	s_or_b64 exec, exec, s[0:1]
	v_mov_b32_e32 v0, v7
	v_lshlrev_b64 v[10:11], 21, v[0:1]
	v_xor_b32_e32 v0, v10, v6
	v_cvt_f64_u32_e32 v[6:7], v11
	v_ldexp_f64 v[6:7], v[6:7], 32
	v_cvt_f64_u32_e32 v[10:11], v0
	v_add_f64 v[6:7], v[6:7], v[10:11]
	v_mov_b32_e32 v10, 0
	v_mov_b32_e32 v11, 0x3ca00000
	v_fmac_f64_e32 v[10:11], 0x3ca00000, v[6:7]
	v_frexp_mant_f64_e32 v[84:85], v[10:11]
	v_cmp_gt_f64_e32 vcc, s[68:69], v[84:85]
	v_mov_b32_e32 v5, 0x3ff00000
	v_mov_b32_e32 v86, v1
	v_cndmask_b32_e64 v87, v5, 2.0, vcc
	v_mul_f64 v[84:85], v[84:85], v[86:87]
	v_add_f64 v[86:87], v[84:85], 1.0
	v_rcp_f64_e32 v[92:93], v[86:87]
	v_add_f64 v[96:97], v[86:87], -1.0
	v_add_f64 v[94:95], v[84:85], -1.0
	v_add_f64 v[84:85], v[84:85], -v[96:97]
	v_fma_f64 v[96:97], -v[86:87], v[92:93], 1.0
	v_fmac_f64_e32 v[92:93], v[96:97], v[92:93]
	v_fma_f64 v[96:97], -v[86:87], v[92:93], 1.0
	v_fmac_f64_e32 v[92:93], v[96:97], v[92:93]
	v_mul_f64 v[96:97], v[94:95], v[92:93]
	v_mul_f64 v[98:99], v[86:87], v[96:97]
	v_fma_f64 v[86:87], v[96:97], v[86:87], -v[98:99]
	v_fmac_f64_e32 v[86:87], v[96:97], v[84:85]
	v_add_f64 v[84:85], v[98:99], v[86:87]
	v_add_f64 v[100:101], v[94:95], -v[84:85]
	v_add_f64 v[98:99], v[84:85], -v[98:99]
	;; [unrolled: 1-line block ×5, first 2 shown]
	v_add_f64 v[84:85], v[86:87], v[84:85]
	v_add_f64 v[84:85], v[100:101], v[84:85]
	v_mul_f64 v[84:85], v[92:93], v[84:85]
	v_add_f64 v[86:87], v[96:97], v[84:85]
	v_add_f64 v[92:93], v[86:87], -v[96:97]
	v_add_f64 v[84:85], v[84:85], -v[92:93]
	v_mul_f64 v[92:93], v[86:87], v[86:87]
	v_mov_b64_e32 v[94:95], v[48:49]
	v_fmac_f64_e32 v[94:95], s[70:71], v[92:93]
	v_mov_b64_e32 v[96:97], v[50:51]
	v_fmac_f64_e32 v[96:97], v[92:93], v[94:95]
	;; [unrolled: 2-line block ×6, first 2 shown]
	v_ldexp_f64 v[94:95], v[86:87], 1
	v_mul_f64 v[86:87], v[86:87], v[92:93]
	v_mul_f64 v[86:87], v[86:87], v[96:97]
	v_add_f64 v[92:93], v[94:95], v[86:87]
	v_mov_b32_e32 v0, v9
	v_add_f64 v[94:95], v[92:93], -v[94:95]
	v_lshlrev_b64 v[6:7], 21, v[0:1]
	v_ldexp_f64 v[84:85], v[84:85], 1
	v_add_f64 v[86:87], v[86:87], -v[94:95]
	v_xor_b32_e32 v0, v6, v8
	v_add_f64 v[84:85], v[84:85], v[86:87]
	v_cvt_f64_u32_e32 v[8:9], v0
	v_frexp_exp_i32_f64_e32 v0, v[10:11]
	v_add_f64 v[86:87], v[92:93], v[84:85]
	v_subbrev_co_u32_e32 v0, vcc, 0, v0, vcc
	v_add_f64 v[92:93], v[86:87], -v[92:93]
	v_add_f64 v[84:85], v[84:85], -v[92:93]
	v_cvt_f64_i32_e32 v[92:93], v0
	v_mul_f64 v[94:95], v[92:93], s[72:73]
	v_fma_f64 v[96:97], v[92:93], s[72:73], -v[94:95]
	v_fmac_f64_e32 v[96:97], s[74:75], v[92:93]
	v_add_f64 v[92:93], v[94:95], v[96:97]
	v_add_f64 v[94:95], v[92:93], -v[94:95]
	v_add_f64 v[94:95], v[96:97], -v[94:95]
	v_add_f64 v[96:97], v[92:93], v[86:87]
	v_add_f64 v[98:99], v[96:97], -v[92:93]
	v_add_f64 v[100:101], v[96:97], -v[98:99]
	;; [unrolled: 1-line block ×4, first 2 shown]
	v_add_f64 v[86:87], v[86:87], v[92:93]
	v_add_f64 v[92:93], v[94:95], v[84:85]
	v_add_f64 v[98:99], v[92:93], -v[94:95]
	v_add_f64 v[100:101], v[92:93], -v[98:99]
	v_add_f64 v[86:87], v[92:93], v[86:87]
	v_add_f64 v[94:95], v[94:95], -v[100:101]
	v_add_f64 v[84:85], v[84:85], -v[98:99]
	v_add_f64 v[92:93], v[96:97], v[86:87]
	v_add_f64 v[84:85], v[84:85], v[94:95]
	v_add_f64 v[94:95], v[92:93], -v[96:97]
	v_add_f64 v[86:87], v[86:87], -v[94:95]
	v_add_f64 v[84:85], v[84:85], v[86:87]
	v_add_f64 v[84:85], v[92:93], v[84:85]
	v_cmp_eq_f64_e32 vcc, s[76:77], v[10:11]
	v_cvt_f64_u32_e32 v[6:7], v7
	v_ldexp_f64 v[6:7], v[6:7], 32
	v_cndmask_b32_e32 v85, v85, v11, vcc
	v_cndmask_b32_e32 v84, v84, v10, vcc
	v_mul_f64 v[84:85], v[84:85], -2.0
	v_cmp_neq_f64_e32 vcc, 0, v[10:11]
	v_add_f64 v[6:7], v[6:7], v[8:9]
	s_nop 0
	v_cndmask_b32_e32 v11, v25, v85, vcc
	v_cndmask_b32_e32 v10, 0, v84, vcc
	v_cmp_gt_f64_e32 vcc, s[78:79], v[10:11]
	v_mov_b32_e32 v84, 0
	v_mov_b32_e32 v85, 0x3cb00000
	v_cndmask_b32_e64 v0, 0, 1, vcc
	v_lshlrev_b32_e32 v0, 8, v0
	v_ldexp_f64 v[10:11], v[10:11], v0
	v_rsq_f64_e32 v[86:87], v[10:11]
	v_fmac_f64_e32 v[84:85], 0x3cb00000, v[6:7]
	v_cndmask_b32_e32 v0, 0, v27, vcc
	v_cmp_class_f64_e32 vcc, v[10:11], v23
	v_mul_f64 v[6:7], v[10:11], v[86:87]
	v_mul_f64 v[8:9], v[86:87], 0.5
	v_fma_f64 v[86:87], -v[8:9], v[6:7], 0.5
	v_fmac_f64_e32 v[6:7], v[6:7], v[86:87]
	v_fma_f64 v[92:93], -v[6:7], v[6:7], v[10:11]
	v_fmac_f64_e32 v[8:9], v[8:9], v[86:87]
	v_fmac_f64_e32 v[6:7], v[92:93], v[8:9]
	v_fma_f64 v[86:87], -v[6:7], v[6:7], v[10:11]
	v_fmac_f64_e32 v[6:7], v[86:87], v[8:9]
	v_ldexp_f64 v[6:7], v[6:7], v0
	v_mul_f64 v[8:9], v[84:85], 0.5
	v_cndmask_b32_e32 v7, v7, v11, vcc
	v_cndmask_b32_e32 v6, v6, v10, vcc
	v_fract_f64_e32 v[10:11], v[8:9]
	v_add_f64 v[10:11], v[10:11], v[10:11]
	v_cmp_neq_f64_e32 vcc, s[76:77], v[8:9]
	v_mov_b64_e32 v[92:93], v[62:63]
	v_cmp_lg_f64_e64 s[2:3], s[76:77], v[84:85]
	v_cndmask_b32_e32 v0, 0, v10, vcc
	v_cndmask_b32_e32 v5, 0, v11, vcc
	v_cmp_lt_f64_e32 vcc, 1.0, v[84:85]
	s_nop 1
	v_cndmask_b32_e32 v11, v85, v5, vcc
	v_cndmask_b32_e32 v10, v84, v0, vcc
	v_add_f64 v[8:9], v[10:11], v[10:11]
	v_rndne_f64_e32 v[8:9], v[8:9]
	v_fmac_f64_e32 v[10:11], -0.5, v[8:9]
	v_cvt_i32_f64_e32 v5, v[8:9]
	v_mul_f64 v[86:87], v[10:11], v[10:11]
	v_mov_b64_e32 v[8:9], v[60:61]
	v_fmac_f64_e32 v[8:9], s[80:81], v[86:87]
	v_fmac_f64_e32 v[92:93], v[86:87], v[8:9]
	v_mov_b64_e32 v[8:9], v[64:65]
	v_fmac_f64_e32 v[8:9], v[86:87], v[92:93]
	v_mov_b64_e32 v[92:93], v[66:67]
	v_fmac_f64_e32 v[92:93], v[86:87], v[8:9]
	v_mov_b64_e32 v[8:9], v[68:69]
	v_fmac_f64_e32 v[8:9], v[86:87], v[92:93]
	v_mul_f64 v[92:93], v[10:11], v[86:87]
	v_mul_f64 v[8:9], v[92:93], v[8:9]
	v_fmac_f64_e32 v[8:9], s[82:83], v[10:11]
	v_mov_b64_e32 v[10:11], v[70:71]
	v_fmac_f64_e32 v[10:11], s[84:85], v[86:87]
	v_mov_b64_e32 v[92:93], v[72:73]
	;; [unrolled: 2-line block ×6, first 2 shown]
	v_lshlrev_b32_e32 v0, 30, v5
	v_and_b32_e32 v5, 1, v5
	v_fmac_f64_e32 v[92:93], v[86:87], v[10:11]
	v_cmp_eq_u32_e64 s[4:5], 0, v5
	v_cndmask_b32_e64 v5, 0, 1, s[48:49]
	v_fma_f64 v[10:11], v[86:87], v[92:93], 1.0
	v_cmp_gt_i64_e32 vcc, s[24:25], v[14:15]
	v_cmp_ne_u32_e64 s[0:1], 1, v5
	s_and_saveexec_b64 s[6:7], vcc
	s_cbranch_execz .LBB5_35
; %bb.20:                               ;   in Loop: Header=BB5_9 Depth=1
	s_and_b64 vcc, exec, s[0:1]
	s_cbranch_vccnz .LBB5_26
; %bb.21:                               ;   in Loop: Header=BB5_9 Depth=1
	s_andn2_b64 vcc, exec, s[50:51]
	s_cbranch_vccnz .LBB5_27
; %bb.22:                               ;   in Loop: Header=BB5_9 Depth=1
	s_mov_b32 s18, 0
	s_andn2_b64 vcc, exec, s[62:63]
	v_mov_b32_e32 v86, 0
	s_cbranch_vccnz .LBB5_28
; %bb.23:                               ;   in Loop: Header=BB5_9 Depth=1
	s_mov_b32 s94, 0
	v_mov_b32_e32 v86, 0
	s_mov_b64 s[86:87], s[46:47]
	s_mov_b64 s[88:89], s[52:53]
	v_mov_b32_e32 v5, v14
.LBB5_24:                               ;   Parent Loop BB5_9 Depth=1
                                        ; =>  This Inner Loop Header: Depth=2
	s_load_dwordx8 s[16:23], s[86:87], 0x4
	s_load_dwordx4 s[36:39], s[86:87], 0x24
	s_load_dwordx4 s[40:43], s[88:89], 0x0
	s_add_u32 s86, s86, 48
	s_addc_u32 s87, s87, 0
	s_waitcnt lgkmcnt(0)
	v_mul_hi_u32 v37, s17, v5
	v_add_u32_e32 v37, v5, v37
	v_lshrrev_b32_e32 v37, s18, v37
	v_mul_lo_u32 v39, v37, s16
	v_mul_hi_u32 v41, s20, v37
	v_sub_u32_e32 v5, v5, v39
	v_add_u32_e32 v39, v37, v41
	v_lshrrev_b32_e32 v39, s21, v39
	v_mul_lo_u32 v41, v39, s19
	v_mul_hi_u32 v43, s23, v39
	v_sub_u32_e32 v37, v37, v41
	v_add_u32_e32 v41, v39, v43
	v_mul_lo_u32 v5, v5, s40
	v_mul_lo_u32 v37, v37, s41
	v_lshrrev_b32_e32 v41, s36, v41
	v_add3_u32 v37, v5, v86, v37
	v_mul_lo_u32 v5, v41, s22
	v_mul_hi_u32 v43, s38, v41
	v_sub_u32_e32 v5, v39, v5
	v_add_u32_e32 v39, v41, v43
	v_mul_lo_u32 v43, v5, s42
	v_lshrrev_b32_e32 v5, s39, v39
	s_add_i32 s94, s94, 4
	v_mul_lo_u32 v39, v5, s37
	s_add_u32 s88, s88, 16
	v_sub_u32_e32 v39, v41, v39
	s_addc_u32 s89, s89, 0
	v_mul_lo_u32 v39, v39, s43
	s_cmp_lg_u32 s91, s94
	v_add3_u32 v86, v43, v37, v39
	s_cbranch_scc1 .LBB5_24
; %bb.25:                               ;   in Loop: Header=BB5_9 Depth=1
	s_mov_b32 s18, s91
	s_andn2_b64 vcc, exec, s[66:67]
	s_cbranch_vccz .LBB5_29
	s_branch .LBB5_31
.LBB5_26:                               ;   in Loop: Header=BB5_9 Depth=1
                                        ; implicit-def: $vgpr86
	s_branch .LBB5_32
.LBB5_27:                               ;   in Loop: Header=BB5_9 Depth=1
	v_mov_b32_e32 v86, 0
	s_branch .LBB5_31
.LBB5_28:                               ;   in Loop: Header=BB5_9 Depth=1
	v_mov_b32_e32 v5, v14
	s_andn2_b64 vcc, exec, s[66:67]
	s_cbranch_vccnz .LBB5_31
.LBB5_29:                               ;   in Loop: Header=BB5_9 Depth=1
	s_lshl_b32 s16, s18, 2
	s_add_u32 s16, s52, s16
	s_addc_u32 s17, s53, 0
	s_mul_i32 s18, s18, 12
	s_add_u32 s18, s46, s18
	s_addc_u32 s19, s47, 0
	s_mov_b32 s20, s15
.LBB5_30:                               ;   Parent Loop BB5_9 Depth=1
                                        ; =>  This Inner Loop Header: Depth=2
	s_load_dwordx2 s[22:23], s[18:19], 0x4
	s_load_dword s21, s[18:19], 0xc
	s_load_dword s36, s[16:17], 0x0
	s_add_u32 s18, s18, 12
	s_addc_u32 s19, s19, 0
	s_waitcnt lgkmcnt(0)
	v_mul_hi_u32 v37, s23, v5
	v_add_u32_e32 v37, v5, v37
	v_lshrrev_b32_e32 v37, s21, v37
	s_add_u32 s16, s16, 4
	v_mul_lo_u32 v39, v37, s22
	s_addc_u32 s17, s17, 0
	s_add_i32 s20, s20, -1
	v_sub_u32_e32 v39, v5, v39
	s_cmp_lg_u32 s20, 0
	v_mov_b32_e32 v5, v37
	v_mad_u64_u32 v[86:87], s[22:23], v39, s36, v[86:87]
	s_cbranch_scc1 .LBB5_30
.LBB5_31:                               ;   in Loop: Header=BB5_9 Depth=1
	s_cbranch_execnz .LBB5_34
.LBB5_32:                               ;   in Loop: Header=BB5_9 Depth=1
	v_mul_hi_u32 v5, v14, s10
	v_add_u32_e32 v5, v5, v14
	v_lshrrev_b32_e32 v5, s11, v5
	v_mul_lo_u32 v37, v5, s9
	v_sub_u32_e32 v37, v14, v37
	s_andn2_b64 vcc, exec, s[54:55]
	s_waitcnt lgkmcnt(0)
	v_mul_lo_u32 v86, v37, s56
	s_cbranch_vccnz .LBB5_34
; %bb.33:                               ;   in Loop: Header=BB5_9 Depth=1
	v_mul_hi_u32 v37, s8, v5
	v_add_u32_e32 v37, v5, v37
	v_lshrrev_b32_e32 v37, s14, v37
	v_mul_lo_u32 v37, v37, s12
	v_sub_u32_e32 v5, v5, v37
	v_mad_u64_u32 v[86:87], s[16:17], v5, s57, v[86:87]
.LBB5_34:                               ;   in Loop: Header=BB5_9 Depth=1
	v_xor_b32_e32 v39, v0, v85
	v_cndmask_b32_e64 v37, v11, v9, s[4:5]
	v_and_b32_e32 v39, 0x80000000, v39
	v_cndmask_b32_e64 v5, v10, v8, s[4:5]
	v_xor_b32_e32 v37, v37, v39
	v_cndmask_b32_e64 v84, 0, v5, s[2:3]
	v_cndmask_b32_e64 v85, v29, v37, s[2:3]
	v_mul_f64 v[84:85], v[6:7], v[84:85]
	v_cvt_f32_f64_e32 v5, v[84:85]
	s_waitcnt lgkmcnt(0)
	v_mov_b32_e32 v37, s30
	v_fma_f32 v5, s31, v5, v37
	v_mul_f32_e32 v37, 0x3fb8aa3b, v5
	v_fma_f32 v39, v5, s13, -v37
	v_rndne_f32_e32 v41, v37
	v_fmac_f32_e32 v39, 0x32a5705f, v5
	v_sub_f32_e32 v37, v37, v41
	v_add_f32_e32 v37, v37, v39
	v_exp_f32_e32 v37, v37
	v_cvt_i32_f32_e32 v39, v41
	v_cmp_ngt_f32_e32 vcc, s92, v5
	v_ldexp_f32 v37, v37, v39
	s_nop 0
	v_cndmask_b32_e32 v37, 0, v37, vcc
	v_cmp_nlt_f32_e32 vcc, s93, v5
	s_nop 1
	v_cndmask_b32_e32 v5, v31, v37, vcc
	global_store_dword v86, v5, s[28:29]
.LBB5_35:                               ;   in Loop: Header=BB5_9 Depth=1
	s_or_b64 exec, exec, s[6:7]
	v_lshl_add_u64 v[86:87], v[14:15], 0, s[26:27]
	v_cmp_gt_i64_e32 vcc, s[24:25], v[86:87]
	s_and_saveexec_b64 s[6:7], vcc
	s_cbranch_execz .LBB5_51
; %bb.36:                               ;   in Loop: Header=BB5_9 Depth=1
	s_and_b64 vcc, exec, s[0:1]
	s_cbranch_vccnz .LBB5_42
; %bb.37:                               ;   in Loop: Header=BB5_9 Depth=1
	s_andn2_b64 vcc, exec, s[50:51]
	s_cbranch_vccnz .LBB5_43
; %bb.38:                               ;   in Loop: Header=BB5_9 Depth=1
	s_mov_b32 s18, 0
	s_andn2_b64 vcc, exec, s[62:63]
	v_mov_b32_e32 v84, 0
	s_cbranch_vccnz .LBB5_44
; %bb.39:                               ;   in Loop: Header=BB5_9 Depth=1
	s_mov_b32 s94, 0
	v_mov_b32_e32 v84, 0
	s_mov_b64 s[86:87], s[46:47]
	s_mov_b64 s[88:89], s[52:53]
	v_mov_b32_e32 v5, v86
.LBB5_40:                               ;   Parent Loop BB5_9 Depth=1
                                        ; =>  This Inner Loop Header: Depth=2
	s_load_dwordx8 s[16:23], s[86:87], 0x4
	s_load_dwordx4 s[36:39], s[86:87], 0x24
	s_load_dwordx4 s[40:43], s[88:89], 0x0
	s_add_u32 s86, s86, 48
	s_addc_u32 s87, s87, 0
	s_waitcnt lgkmcnt(0)
	v_mul_hi_u32 v37, s17, v5
	v_add_u32_e32 v37, v5, v37
	v_lshrrev_b32_e32 v37, s18, v37
	v_mul_lo_u32 v39, v37, s16
	v_mul_hi_u32 v41, s20, v37
	v_sub_u32_e32 v5, v5, v39
	v_add_u32_e32 v39, v37, v41
	v_lshrrev_b32_e32 v39, s21, v39
	v_mul_lo_u32 v41, v39, s19
	v_mul_hi_u32 v43, s23, v39
	v_sub_u32_e32 v37, v37, v41
	v_add_u32_e32 v41, v39, v43
	v_mul_lo_u32 v5, v5, s40
	v_mul_lo_u32 v37, v37, s41
	v_lshrrev_b32_e32 v41, s36, v41
	v_add3_u32 v37, v5, v84, v37
	v_mul_lo_u32 v5, v41, s22
	v_mul_hi_u32 v43, s38, v41
	v_sub_u32_e32 v5, v39, v5
	v_add_u32_e32 v39, v41, v43
	v_mul_lo_u32 v43, v5, s42
	v_lshrrev_b32_e32 v5, s39, v39
	s_add_i32 s94, s94, 4
	v_mul_lo_u32 v39, v5, s37
	s_add_u32 s88, s88, 16
	v_sub_u32_e32 v39, v41, v39
	s_addc_u32 s89, s89, 0
	v_mul_lo_u32 v39, v39, s43
	s_cmp_eq_u32 s91, s94
	v_add3_u32 v84, v43, v37, v39
	s_cbranch_scc0 .LBB5_40
; %bb.41:                               ;   in Loop: Header=BB5_9 Depth=1
	s_mov_b32 s18, s91
	s_andn2_b64 vcc, exec, s[66:67]
	s_cbranch_vccz .LBB5_45
	s_branch .LBB5_47
.LBB5_42:                               ;   in Loop: Header=BB5_9 Depth=1
                                        ; implicit-def: $vgpr84
	s_branch .LBB5_48
.LBB5_43:                               ;   in Loop: Header=BB5_9 Depth=1
	v_mov_b32_e32 v84, 0
	s_branch .LBB5_47
.LBB5_44:                               ;   in Loop: Header=BB5_9 Depth=1
	v_mov_b32_e32 v5, v86
	s_andn2_b64 vcc, exec, s[66:67]
	s_cbranch_vccnz .LBB5_47
.LBB5_45:                               ;   in Loop: Header=BB5_9 Depth=1
	s_lshl_b32 s16, s18, 2
	s_add_u32 s16, s52, s16
	s_addc_u32 s17, s53, 0
	s_mul_i32 s18, s18, 12
	s_add_u32 s18, s46, s18
	s_addc_u32 s19, s47, 0
	s_mov_b32 s20, s15
.LBB5_46:                               ;   Parent Loop BB5_9 Depth=1
                                        ; =>  This Inner Loop Header: Depth=2
	s_load_dwordx2 s[22:23], s[18:19], 0x4
	s_load_dword s21, s[18:19], 0xc
	s_load_dword s36, s[16:17], 0x0
	s_add_u32 s18, s18, 12
	s_addc_u32 s19, s19, 0
	s_waitcnt lgkmcnt(0)
	v_mul_hi_u32 v37, s23, v5
	v_add_u32_e32 v37, v5, v37
	v_lshrrev_b32_e32 v37, s21, v37
	s_add_u32 s16, s16, 4
	v_mul_lo_u32 v39, v37, s22
	s_addc_u32 s17, s17, 0
	s_add_i32 s20, s20, -1
	v_sub_u32_e32 v39, v5, v39
	s_cmp_lg_u32 s20, 0
	v_mov_b32_e32 v5, v37
	v_mad_u64_u32 v[84:85], s[22:23], v39, s36, v[84:85]
	s_cbranch_scc1 .LBB5_46
.LBB5_47:                               ;   in Loop: Header=BB5_9 Depth=1
	s_cbranch_execnz .LBB5_50
.LBB5_48:                               ;   in Loop: Header=BB5_9 Depth=1
	v_mul_hi_u32 v5, v86, s10
	v_add_u32_e32 v5, v5, v86
	v_lshrrev_b32_e32 v5, s11, v5
	v_mul_lo_u32 v37, v5, s9
	v_sub_u32_e32 v37, v86, v37
	s_andn2_b64 vcc, exec, s[54:55]
	s_waitcnt lgkmcnt(0)
	v_mul_lo_u32 v84, v37, s56
	s_cbranch_vccnz .LBB5_50
; %bb.49:                               ;   in Loop: Header=BB5_9 Depth=1
	v_mul_hi_u32 v37, s8, v5
	v_add_u32_e32 v37, v5, v37
	v_lshrrev_b32_e32 v37, s14, v37
	v_mul_lo_u32 v37, v37, s12
	v_sub_u32_e32 v5, v5, v37
	v_mad_u64_u32 v[84:85], s[16:17], v5, s57, v[84:85]
.LBB5_50:                               ;   in Loop: Header=BB5_9 Depth=1
	v_xor_b32_e32 v5, 0x80000000, v9
	v_and_b32_e32 v0, 0x80000000, v0
	v_cndmask_b32_e64 v5, v5, v11, s[4:5]
	v_cndmask_b32_e64 v8, v8, v10, s[4:5]
	v_xor_b32_e32 v0, v5, v0
	v_cndmask_b32_e64 v9, v29, v0, s[2:3]
	v_cndmask_b32_e64 v8, 0, v8, s[2:3]
	v_mul_f64 v[6:7], v[6:7], v[8:9]
	v_cvt_f32_f64_e32 v0, v[6:7]
	s_waitcnt lgkmcnt(0)
	v_mov_b32_e32 v5, s30
	v_fma_f32 v0, s31, v0, v5
	v_mul_f32_e32 v5, 0x3fb8aa3b, v0
	v_fma_f32 v6, v0, s13, -v5
	v_rndne_f32_e32 v7, v5
	v_fmac_f32_e32 v6, 0x32a5705f, v0
	v_sub_f32_e32 v5, v5, v7
	v_add_f32_e32 v5, v5, v6
	v_exp_f32_e32 v5, v5
	v_cvt_i32_f32_e32 v6, v7
	v_cmp_ngt_f32_e32 vcc, s92, v0
	v_ldexp_f32 v5, v5, v6
	s_nop 0
	v_cndmask_b32_e32 v5, 0, v5, vcc
	v_cmp_nlt_f32_e32 vcc, s93, v0
	s_nop 1
	v_cndmask_b32_e32 v0, v31, v5, vcc
	global_store_dword v84, v0, s[28:29]
.LBB5_51:                               ;   in Loop: Header=BB5_9 Depth=1
	s_or_b64 exec, exec, s[6:7]
	v_lshl_add_u64 v[6:7], v[14:15], 0, s[58:59]
	v_cmp_gt_i64_e32 vcc, s[24:25], v[6:7]
	s_and_saveexec_b64 s[2:3], vcc
	s_cbranch_execz .LBB5_67
; %bb.52:                               ;   in Loop: Header=BB5_9 Depth=1
	s_and_b64 vcc, exec, s[0:1]
	s_cbranch_vccnz .LBB5_58
; %bb.53:                               ;   in Loop: Header=BB5_9 Depth=1
	s_andn2_b64 vcc, exec, s[50:51]
	s_cbranch_vccnz .LBB5_59
; %bb.54:                               ;   in Loop: Header=BB5_9 Depth=1
	s_mov_b32 s6, 0
	s_andn2_b64 vcc, exec, s[62:63]
	v_mov_b32_e32 v8, 0
	s_cbranch_vccnz .LBB5_60
; %bb.55:                               ;   in Loop: Header=BB5_9 Depth=1
	s_mov_b32 s86, 0
	v_mov_b32_e32 v8, 0
	s_mov_b64 s[40:41], s[46:47]
	s_mov_b64 s[42:43], s[52:53]
	v_mov_b32_e32 v0, v6
.LBB5_56:                               ;   Parent Loop BB5_9 Depth=1
                                        ; =>  This Inner Loop Header: Depth=2
	s_load_dwordx8 s[16:23], s[40:41], 0x4
	s_load_dwordx4 s[4:7], s[40:41], 0x24
	s_load_dwordx4 s[36:39], s[42:43], 0x0
	s_add_u32 s40, s40, 48
	s_addc_u32 s41, s41, 0
	s_waitcnt lgkmcnt(0)
	v_mul_hi_u32 v5, s17, v0
	v_add_u32_e32 v5, v0, v5
	v_lshrrev_b32_e32 v5, s18, v5
	v_mul_lo_u32 v7, v5, s16
	v_mul_hi_u32 v9, s20, v5
	v_sub_u32_e32 v0, v0, v7
	v_add_u32_e32 v7, v5, v9
	v_lshrrev_b32_e32 v7, s21, v7
	v_mul_lo_u32 v9, v7, s19
	v_mul_hi_u32 v10, s23, v7
	v_sub_u32_e32 v5, v5, v9
	v_add_u32_e32 v9, v7, v10
	v_mul_lo_u32 v0, v0, s36
	v_mul_lo_u32 v5, v5, s37
	v_lshrrev_b32_e32 v9, s4, v9
	v_add3_u32 v5, v0, v8, v5
	v_mul_lo_u32 v0, v9, s22
	v_mul_hi_u32 v8, s6, v9
	v_sub_u32_e32 v0, v7, v0
	v_add_u32_e32 v7, v9, v8
	v_mul_lo_u32 v8, v0, s38
	v_lshrrev_b32_e32 v0, s7, v7
	s_add_i32 s86, s86, 4
	v_mul_lo_u32 v7, v0, s5
	s_add_u32 s42, s42, 16
	v_sub_u32_e32 v7, v9, v7
	s_addc_u32 s43, s43, 0
	v_mul_lo_u32 v7, v7, s39
	s_cmp_eq_u32 s91, s86
	v_add3_u32 v8, v8, v5, v7
	s_cbranch_scc0 .LBB5_56
; %bb.57:                               ;   in Loop: Header=BB5_9 Depth=1
	s_mov_b32 s6, s91
	s_andn2_b64 vcc, exec, s[66:67]
	s_cbranch_vccz .LBB5_61
	s_branch .LBB5_63
.LBB5_58:                               ;   in Loop: Header=BB5_9 Depth=1
                                        ; implicit-def: $vgpr8
	s_branch .LBB5_64
.LBB5_59:                               ;   in Loop: Header=BB5_9 Depth=1
	v_mov_b32_e32 v8, 0
	s_branch .LBB5_63
.LBB5_60:                               ;   in Loop: Header=BB5_9 Depth=1
	v_mov_b32_e32 v0, v6
	s_andn2_b64 vcc, exec, s[66:67]
	s_cbranch_vccnz .LBB5_63
.LBB5_61:                               ;   in Loop: Header=BB5_9 Depth=1
	s_lshl_b32 s4, s6, 2
	s_add_u32 s4, s52, s4
	s_addc_u32 s5, s53, 0
	s_mul_i32 s6, s6, 12
	s_add_u32 s6, s46, s6
	s_addc_u32 s7, s47, 0
	s_mov_b32 s16, s15
.LBB5_62:                               ;   Parent Loop BB5_9 Depth=1
                                        ; =>  This Inner Loop Header: Depth=2
	s_load_dwordx2 s[18:19], s[6:7], 0x4
	s_load_dword s17, s[6:7], 0xc
	s_load_dword s20, s[4:5], 0x0
	s_add_u32 s6, s6, 12
	s_addc_u32 s7, s7, 0
	s_waitcnt lgkmcnt(0)
	v_mul_hi_u32 v5, s19, v0
	v_add_u32_e32 v5, v0, v5
	v_lshrrev_b32_e32 v5, s17, v5
	s_add_u32 s4, s4, 4
	v_mul_lo_u32 v7, v5, s18
	s_addc_u32 s5, s5, 0
	s_add_i32 s16, s16, -1
	v_sub_u32_e32 v7, v0, v7
	s_cmp_lg_u32 s16, 0
	v_mov_b32_e32 v0, v5
	v_mad_u64_u32 v[8:9], s[18:19], v7, s20, v[8:9]
	s_cbranch_scc1 .LBB5_62
.LBB5_63:                               ;   in Loop: Header=BB5_9 Depth=1
	s_cbranch_execnz .LBB5_66
.LBB5_64:                               ;   in Loop: Header=BB5_9 Depth=1
	v_mul_hi_u32 v0, v6, s10
	v_add_u32_e32 v0, v0, v6
	v_lshrrev_b32_e32 v0, s11, v0
	v_mul_lo_u32 v5, v0, s9
	v_sub_u32_e32 v5, v6, v5
	s_andn2_b64 vcc, exec, s[54:55]
	s_waitcnt lgkmcnt(0)
	v_mul_lo_u32 v8, v5, s56
	s_cbranch_vccnz .LBB5_66
; %bb.65:                               ;   in Loop: Header=BB5_9 Depth=1
	v_mul_hi_u32 v5, s8, v0
	v_add_u32_e32 v5, v0, v5
	v_lshrrev_b32_e32 v5, s14, v5
	v_mul_lo_u32 v5, v5, s12
	v_sub_u32_e32 v0, v0, v5
	v_mad_u64_u32 v[8:9], s[4:5], v0, s57, v[8:9]
.LBB5_66:                               ;   in Loop: Header=BB5_9 Depth=1
	s_waitcnt lgkmcnt(0)
	global_store_dword v8, v21, s[28:29]
.LBB5_67:                               ;   in Loop: Header=BB5_9 Depth=1
	s_or_b64 exec, exec, s[2:3]
	v_lshl_add_u64 v[6:7], v[14:15], 0, s[60:61]
	v_cmp_gt_i64_e32 vcc, s[24:25], v[6:7]
	s_and_saveexec_b64 s[36:37], vcc
	s_cbranch_execz .LBB5_8
; %bb.68:                               ;   in Loop: Header=BB5_9 Depth=1
	s_and_b64 vcc, exec, s[0:1]
	s_cbranch_vccnz .LBB5_74
; %bb.69:                               ;   in Loop: Header=BB5_9 Depth=1
	s_andn2_b64 vcc, exec, s[50:51]
	s_cbranch_vccnz .LBB5_75
; %bb.70:                               ;   in Loop: Header=BB5_9 Depth=1
	s_mov_b32 s2, 0
	s_andn2_b64 vcc, exec, s[62:63]
	v_mov_b32_e32 v8, 0
	s_cbranch_vccnz .LBB5_76
; %bb.71:                               ;   in Loop: Header=BB5_9 Depth=1
	s_mov_b32 s42, 0
	v_mov_b32_e32 v8, 0
	s_mov_b64 s[38:39], s[46:47]
	s_mov_b64 s[40:41], s[52:53]
	v_mov_b32_e32 v0, v6
.LBB5_72:                               ;   Parent Loop BB5_9 Depth=1
                                        ; =>  This Inner Loop Header: Depth=2
	s_load_dwordx8 s[0:7], s[38:39], 0x4
	s_load_dwordx4 s[16:19], s[38:39], 0x24
	s_load_dwordx4 s[20:23], s[40:41], 0x0
	s_add_u32 s38, s38, 48
	s_addc_u32 s39, s39, 0
	s_waitcnt lgkmcnt(0)
	v_mul_hi_u32 v5, s1, v0
	v_add_u32_e32 v5, v0, v5
	v_lshrrev_b32_e32 v5, s2, v5
	v_mul_lo_u32 v7, v5, s0
	v_mul_hi_u32 v9, s4, v5
	v_sub_u32_e32 v0, v0, v7
	v_add_u32_e32 v7, v5, v9
	v_lshrrev_b32_e32 v7, s5, v7
	v_mul_lo_u32 v9, v7, s3
	v_mul_hi_u32 v10, s7, v7
	v_sub_u32_e32 v5, v5, v9
	v_add_u32_e32 v9, v7, v10
	v_mul_lo_u32 v0, v0, s20
	v_mul_lo_u32 v5, v5, s21
	v_lshrrev_b32_e32 v9, s16, v9
	v_add3_u32 v5, v0, v8, v5
	v_mul_lo_u32 v0, v9, s6
	v_mul_hi_u32 v8, s18, v9
	v_sub_u32_e32 v0, v7, v0
	v_add_u32_e32 v7, v9, v8
	v_mul_lo_u32 v8, v0, s22
	v_lshrrev_b32_e32 v0, s19, v7
	s_add_i32 s42, s42, 4
	v_mul_lo_u32 v7, v0, s17
	s_add_u32 s40, s40, 16
	v_sub_u32_e32 v7, v9, v7
	s_addc_u32 s41, s41, 0
	v_mul_lo_u32 v7, v7, s23
	s_cmp_eq_u32 s91, s42
	v_add3_u32 v8, v8, v5, v7
	s_cbranch_scc0 .LBB5_72
; %bb.73:                               ;   in Loop: Header=BB5_9 Depth=1
	s_mov_b32 s2, s91
	s_andn2_b64 vcc, exec, s[66:67]
	s_cbranch_vccz .LBB5_77
	s_branch .LBB5_79
.LBB5_74:                               ;   in Loop: Header=BB5_9 Depth=1
                                        ; implicit-def: $vgpr8
	s_branch .LBB5_80
.LBB5_75:                               ;   in Loop: Header=BB5_9 Depth=1
	v_mov_b32_e32 v8, 0
	s_branch .LBB5_79
.LBB5_76:                               ;   in Loop: Header=BB5_9 Depth=1
	v_mov_b32_e32 v0, v6
	s_andn2_b64 vcc, exec, s[66:67]
	s_cbranch_vccnz .LBB5_79
.LBB5_77:                               ;   in Loop: Header=BB5_9 Depth=1
	s_lshl_b32 s0, s2, 2
	s_add_u32 s0, s52, s0
	s_addc_u32 s1, s53, 0
	s_mul_i32 s2, s2, 12
	s_add_u32 s2, s46, s2
	s_addc_u32 s3, s47, 0
	s_mov_b32 s4, s15
.LBB5_78:                               ;   Parent Loop BB5_9 Depth=1
                                        ; =>  This Inner Loop Header: Depth=2
	s_load_dwordx2 s[6:7], s[2:3], 0x4
	s_load_dword s5, s[2:3], 0xc
	s_load_dword s16, s[0:1], 0x0
	s_add_u32 s2, s2, 12
	s_addc_u32 s3, s3, 0
	s_waitcnt lgkmcnt(0)
	v_mul_hi_u32 v5, s7, v0
	v_add_u32_e32 v5, v0, v5
	v_lshrrev_b32_e32 v5, s5, v5
	s_add_u32 s0, s0, 4
	v_mul_lo_u32 v7, v5, s6
	s_addc_u32 s1, s1, 0
	s_add_i32 s4, s4, -1
	v_sub_u32_e32 v7, v0, v7
	s_cmp_lg_u32 s4, 0
	v_mov_b32_e32 v0, v5
	v_mad_u64_u32 v[8:9], s[6:7], v7, s16, v[8:9]
	s_cbranch_scc1 .LBB5_78
.LBB5_79:                               ;   in Loop: Header=BB5_9 Depth=1
	s_cbranch_execnz .LBB5_7
.LBB5_80:                               ;   in Loop: Header=BB5_9 Depth=1
	v_mul_hi_u32 v0, v6, s10
	v_add_u32_e32 v0, v0, v6
	v_lshrrev_b32_e32 v0, s11, v0
	v_mul_lo_u32 v5, v0, s9
	v_sub_u32_e32 v5, v6, v5
	s_andn2_b64 vcc, exec, s[54:55]
	s_waitcnt lgkmcnt(0)
	v_mul_lo_u32 v8, v5, s56
	s_cbranch_vccnz .LBB5_7
; %bb.81:                               ;   in Loop: Header=BB5_9 Depth=1
	v_mul_hi_u32 v5, s8, v0
	v_add_u32_e32 v5, v0, v5
	v_lshrrev_b32_e32 v5, s14, v5
	v_mul_lo_u32 v5, v5, s12
	v_sub_u32_e32 v0, v0, v5
	v_mad_u64_u32 v[8:9], s[0:1], v0, s57, v[8:9]
	s_branch .LBB5_7
.LBB5_82:
	s_endpgm
.LBB5_83:
                                        ; implicit-def: $sgpr6_sgpr7
	s_andn2_b64 vcc, exec, s[4:5]
	s_cbranch_vccz .LBB5_4
	s_branch .LBB5_5
	.section	.rodata,"a",@progbits
	.p2align	6, 0x0
	.amdhsa_kernel _ZN2at6native12_GLOBAL__N_143distribution_elementwise_grid_stride_kernelIfLi4EZNS0_9templates4cuda20normal_and_transformIffPNS_17CUDAGeneratorImplEZZZNS4_17log_normal_kernelIS7_EEvRNS_18TensorIteratorBaseEddT_ENKUlvE_clEvENKUlvE0_clEvEUlfE_EEvSA_T1_T2_EUlP25hiprandStatePhilox4_32_10E_ZNS1_27distribution_nullary_kernelIff15HIP_vector_typeIdLj2EES7_SJ_SE_EEvSA_SG_RKT3_T4_EUlifE0_EEvlNS_15PhiloxCudaStateESF_SG_
		.amdhsa_group_segment_fixed_size 0
		.amdhsa_private_segment_fixed_size 0
		.amdhsa_kernarg_size 584
		.amdhsa_user_sgpr_count 2
		.amdhsa_user_sgpr_dispatch_ptr 0
		.amdhsa_user_sgpr_queue_ptr 0
		.amdhsa_user_sgpr_kernarg_segment_ptr 1
		.amdhsa_user_sgpr_dispatch_id 0
		.amdhsa_user_sgpr_kernarg_preload_length 0
		.amdhsa_user_sgpr_kernarg_preload_offset 0
		.amdhsa_user_sgpr_private_segment_size 0
		.amdhsa_uses_dynamic_stack 0
		.amdhsa_enable_private_segment 0
		.amdhsa_system_sgpr_workgroup_id_x 1
		.amdhsa_system_sgpr_workgroup_id_y 0
		.amdhsa_system_sgpr_workgroup_id_z 0
		.amdhsa_system_sgpr_workgroup_info 0
		.amdhsa_system_vgpr_workitem_id 0
		.amdhsa_next_free_vgpr 102
		.amdhsa_next_free_sgpr 95
		.amdhsa_accum_offset 104
		.amdhsa_reserve_vcc 1
		.amdhsa_float_round_mode_32 0
		.amdhsa_float_round_mode_16_64 0
		.amdhsa_float_denorm_mode_32 3
		.amdhsa_float_denorm_mode_16_64 3
		.amdhsa_dx10_clamp 1
		.amdhsa_ieee_mode 1
		.amdhsa_fp16_overflow 0
		.amdhsa_tg_split 0
		.amdhsa_exception_fp_ieee_invalid_op 0
		.amdhsa_exception_fp_denorm_src 0
		.amdhsa_exception_fp_ieee_div_zero 0
		.amdhsa_exception_fp_ieee_overflow 0
		.amdhsa_exception_fp_ieee_underflow 0
		.amdhsa_exception_fp_ieee_inexact 0
		.amdhsa_exception_int_div_zero 0
	.end_amdhsa_kernel
	.section	.text._ZN2at6native12_GLOBAL__N_143distribution_elementwise_grid_stride_kernelIfLi4EZNS0_9templates4cuda20normal_and_transformIffPNS_17CUDAGeneratorImplEZZZNS4_17log_normal_kernelIS7_EEvRNS_18TensorIteratorBaseEddT_ENKUlvE_clEvENKUlvE0_clEvEUlfE_EEvSA_T1_T2_EUlP25hiprandStatePhilox4_32_10E_ZNS1_27distribution_nullary_kernelIff15HIP_vector_typeIdLj2EES7_SJ_SE_EEvSA_SG_RKT3_T4_EUlifE0_EEvlNS_15PhiloxCudaStateESF_SG_,"axG",@progbits,_ZN2at6native12_GLOBAL__N_143distribution_elementwise_grid_stride_kernelIfLi4EZNS0_9templates4cuda20normal_and_transformIffPNS_17CUDAGeneratorImplEZZZNS4_17log_normal_kernelIS7_EEvRNS_18TensorIteratorBaseEddT_ENKUlvE_clEvENKUlvE0_clEvEUlfE_EEvSA_T1_T2_EUlP25hiprandStatePhilox4_32_10E_ZNS1_27distribution_nullary_kernelIff15HIP_vector_typeIdLj2EES7_SJ_SE_EEvSA_SG_RKT3_T4_EUlifE0_EEvlNS_15PhiloxCudaStateESF_SG_,comdat
.Lfunc_end5:
	.size	_ZN2at6native12_GLOBAL__N_143distribution_elementwise_grid_stride_kernelIfLi4EZNS0_9templates4cuda20normal_and_transformIffPNS_17CUDAGeneratorImplEZZZNS4_17log_normal_kernelIS7_EEvRNS_18TensorIteratorBaseEddT_ENKUlvE_clEvENKUlvE0_clEvEUlfE_EEvSA_T1_T2_EUlP25hiprandStatePhilox4_32_10E_ZNS1_27distribution_nullary_kernelIff15HIP_vector_typeIdLj2EES7_SJ_SE_EEvSA_SG_RKT3_T4_EUlifE0_EEvlNS_15PhiloxCudaStateESF_SG_, .Lfunc_end5-_ZN2at6native12_GLOBAL__N_143distribution_elementwise_grid_stride_kernelIfLi4EZNS0_9templates4cuda20normal_and_transformIffPNS_17CUDAGeneratorImplEZZZNS4_17log_normal_kernelIS7_EEvRNS_18TensorIteratorBaseEddT_ENKUlvE_clEvENKUlvE0_clEvEUlfE_EEvSA_T1_T2_EUlP25hiprandStatePhilox4_32_10E_ZNS1_27distribution_nullary_kernelIff15HIP_vector_typeIdLj2EES7_SJ_SE_EEvSA_SG_RKT3_T4_EUlifE0_EEvlNS_15PhiloxCudaStateESF_SG_
                                        ; -- End function
	.section	.AMDGPU.csdata,"",@progbits
; Kernel info:
; codeLenInByte = 6276
; NumSgprs: 101
; NumVgprs: 102
; NumAgprs: 0
; TotalNumVgprs: 102
; ScratchSize: 0
; MemoryBound: 0
; FloatMode: 240
; IeeeMode: 1
; LDSByteSize: 0 bytes/workgroup (compile time only)
; SGPRBlocks: 12
; VGPRBlocks: 12
; NumSGPRsForWavesPerEU: 101
; NumVGPRsForWavesPerEU: 102
; AccumOffset: 104
; Occupancy: 4
; WaveLimiterHint : 1
; COMPUTE_PGM_RSRC2:SCRATCH_EN: 0
; COMPUTE_PGM_RSRC2:USER_SGPR: 2
; COMPUTE_PGM_RSRC2:TRAP_HANDLER: 0
; COMPUTE_PGM_RSRC2:TGID_X_EN: 1
; COMPUTE_PGM_RSRC2:TGID_Y_EN: 0
; COMPUTE_PGM_RSRC2:TGID_Z_EN: 0
; COMPUTE_PGM_RSRC2:TIDIG_COMP_CNT: 0
; COMPUTE_PGM_RSRC3_GFX90A:ACCUM_OFFSET: 25
; COMPUTE_PGM_RSRC3_GFX90A:TG_SPLIT: 0
	.section	.text._ZN2at6native12_GLOBAL__N_143distribution_elementwise_grid_stride_kernelIfLi4EZNS0_9templates4cuda20normal_and_transformIffPNS_17CUDAGeneratorImplEZZZNS4_17log_normal_kernelIS7_EEvRNS_18TensorIteratorBaseEddT_ENKUlvE_clEvENKUlvE0_clEvEUlfE_EEvSA_T1_T2_EUlP25hiprandStatePhilox4_32_10E0_ZNS1_27distribution_nullary_kernelIff15HIP_vector_typeIfLj4EES7_SJ_SE_EEvSA_SG_RKT3_T4_EUlifE_EEvlNS_15PhiloxCudaStateESF_SG_,"axG",@progbits,_ZN2at6native12_GLOBAL__N_143distribution_elementwise_grid_stride_kernelIfLi4EZNS0_9templates4cuda20normal_and_transformIffPNS_17CUDAGeneratorImplEZZZNS4_17log_normal_kernelIS7_EEvRNS_18TensorIteratorBaseEddT_ENKUlvE_clEvENKUlvE0_clEvEUlfE_EEvSA_T1_T2_EUlP25hiprandStatePhilox4_32_10E0_ZNS1_27distribution_nullary_kernelIff15HIP_vector_typeIfLj4EES7_SJ_SE_EEvSA_SG_RKT3_T4_EUlifE_EEvlNS_15PhiloxCudaStateESF_SG_,comdat
	.globl	_ZN2at6native12_GLOBAL__N_143distribution_elementwise_grid_stride_kernelIfLi4EZNS0_9templates4cuda20normal_and_transformIffPNS_17CUDAGeneratorImplEZZZNS4_17log_normal_kernelIS7_EEvRNS_18TensorIteratorBaseEddT_ENKUlvE_clEvENKUlvE0_clEvEUlfE_EEvSA_T1_T2_EUlP25hiprandStatePhilox4_32_10E0_ZNS1_27distribution_nullary_kernelIff15HIP_vector_typeIfLj4EES7_SJ_SE_EEvSA_SG_RKT3_T4_EUlifE_EEvlNS_15PhiloxCudaStateESF_SG_ ; -- Begin function _ZN2at6native12_GLOBAL__N_143distribution_elementwise_grid_stride_kernelIfLi4EZNS0_9templates4cuda20normal_and_transformIffPNS_17CUDAGeneratorImplEZZZNS4_17log_normal_kernelIS7_EEvRNS_18TensorIteratorBaseEddT_ENKUlvE_clEvENKUlvE0_clEvEUlfE_EEvSA_T1_T2_EUlP25hiprandStatePhilox4_32_10E0_ZNS1_27distribution_nullary_kernelIff15HIP_vector_typeIfLj4EES7_SJ_SE_EEvSA_SG_RKT3_T4_EUlifE_EEvlNS_15PhiloxCudaStateESF_SG_
	.p2align	8
	.type	_ZN2at6native12_GLOBAL__N_143distribution_elementwise_grid_stride_kernelIfLi4EZNS0_9templates4cuda20normal_and_transformIffPNS_17CUDAGeneratorImplEZZZNS4_17log_normal_kernelIS7_EEvRNS_18TensorIteratorBaseEddT_ENKUlvE_clEvENKUlvE0_clEvEUlfE_EEvSA_T1_T2_EUlP25hiprandStatePhilox4_32_10E0_ZNS1_27distribution_nullary_kernelIff15HIP_vector_typeIfLj4EES7_SJ_SE_EEvSA_SG_RKT3_T4_EUlifE_EEvlNS_15PhiloxCudaStateESF_SG_,@function
_ZN2at6native12_GLOBAL__N_143distribution_elementwise_grid_stride_kernelIfLi4EZNS0_9templates4cuda20normal_and_transformIffPNS_17CUDAGeneratorImplEZZZNS4_17log_normal_kernelIS7_EEvRNS_18TensorIteratorBaseEddT_ENKUlvE_clEvENKUlvE0_clEvEUlfE_EEvSA_T1_T2_EUlP25hiprandStatePhilox4_32_10E0_ZNS1_27distribution_nullary_kernelIff15HIP_vector_typeIfLj4EES7_SJ_SE_EEvSA_SG_RKT3_T4_EUlifE_EEvlNS_15PhiloxCudaStateESF_SG_: ; @_ZN2at6native12_GLOBAL__N_143distribution_elementwise_grid_stride_kernelIfLi4EZNS0_9templates4cuda20normal_and_transformIffPNS_17CUDAGeneratorImplEZZZNS4_17log_normal_kernelIS7_EEvRNS_18TensorIteratorBaseEddT_ENKUlvE_clEvENKUlvE0_clEvEUlfE_EEvSA_T1_T2_EUlP25hiprandStatePhilox4_32_10E0_ZNS1_27distribution_nullary_kernelIff15HIP_vector_typeIfLj4EES7_SJ_SE_EEvSA_SG_RKT3_T4_EUlifE_EEvlNS_15PhiloxCudaStateESF_SG_
; %bb.0:
	s_load_dword s3, s[0:1], 0x20
	s_load_dwordx2 s[8:9], s[0:1], 0x10
	s_load_dwordx4 s[4:7], s[0:1], 0x0
	s_mov_b32 s13, 0
	s_waitcnt lgkmcnt(0)
	s_bitcmp0_b32 s3, 0
	v_mov_b64_e32 v[2:3], s[8:9]
	v_mov_b64_e32 v[14:15], s[6:7]
	s_cbranch_scc1 .LBB6_2
; %bb.1:
	v_mov_b64_e32 v[4:5], s[8:9]
	v_mov_b64_e32 v[2:3], s[6:7]
	flat_load_dwordx2 v[6:7], v[4:5]
	flat_load_dwordx2 v[14:15], v[2:3]
	s_load_dwordx2 s[6:7], s[0:1], 0x18
	s_waitcnt vmcnt(0) lgkmcnt(0)
	v_lshl_add_u64 v[2:3], v[6:7], 0, s[6:7]
.LBB6_2:
	s_load_dword s3, s[0:1], 0x54
	s_load_dword s22, s[0:1], 0x48
	s_mov_b32 s10, s13
	s_mov_b64 s[8:9], -1
	s_waitcnt lgkmcnt(0)
	s_and_b32 s3, s3, 0xffff
	s_add_u32 s7, s4, -1
	s_mul_i32 s6, s22, s3
	s_addc_u32 s11, s5, -1
	s_lshl_b32 s12, s6, 2
	s_cmp_lg_u64 s[10:11], 0
	s_cbranch_scc0 .LBB6_27
; %bb.3:
	v_cvt_f32_u32_e32 v1, s12
	v_cvt_f32_ubyte0_e32 v4, 0
	s_sub_u32 s10, 0, s12
	s_subb_u32 s14, 0, 0
	v_fmamk_f32 v1, v4, 0x4f800000, v1
	v_rcp_f32_e32 v1, v1
	s_nop 0
	v_mul_f32_e32 v1, 0x5f7ffffc, v1
	v_mul_f32_e32 v4, 0x2f800000, v1
	v_trunc_f32_e32 v4, v4
	v_fmamk_f32 v1, v4, 0xcf800000, v1
	v_cvt_u32_f32_e32 v4, v4
	v_cvt_u32_f32_e32 v1, v1
	v_readfirstlane_b32 s15, v4
	v_readfirstlane_b32 s16, v1
	s_mul_i32 s17, s10, s15
	s_mul_hi_u32 s19, s10, s16
	s_mul_i32 s18, s14, s16
	s_add_i32 s17, s19, s17
	s_add_i32 s17, s17, s18
	s_mul_i32 s20, s10, s16
	s_mul_hi_u32 s18, s16, s17
	s_mul_i32 s19, s16, s17
	s_mul_hi_u32 s16, s16, s20
	s_add_u32 s16, s16, s19
	s_addc_u32 s18, 0, s18
	s_mul_hi_u32 s21, s15, s20
	s_mul_i32 s20, s15, s20
	s_add_u32 s16, s16, s20
	s_mul_hi_u32 s19, s15, s17
	s_addc_u32 s16, s18, s21
	s_addc_u32 s18, s19, 0
	s_mul_i32 s17, s15, s17
	s_add_u32 s16, s16, s17
	s_addc_u32 s17, 0, s18
	v_add_co_u32_e32 v1, vcc, s16, v1
	s_cmp_lg_u64 vcc, 0
	s_addc_u32 s15, s15, s17
	v_readfirstlane_b32 s17, v1
	s_mul_i32 s16, s10, s15
	s_mul_hi_u32 s18, s10, s17
	s_add_i32 s16, s18, s16
	s_mul_i32 s14, s14, s17
	s_add_i32 s16, s16, s14
	s_mul_i32 s10, s10, s17
	s_mul_hi_u32 s18, s15, s10
	s_mul_i32 s19, s15, s10
	s_mul_i32 s21, s17, s16
	s_mul_hi_u32 s10, s17, s10
	s_mul_hi_u32 s20, s17, s16
	s_add_u32 s10, s10, s21
	s_addc_u32 s17, 0, s20
	s_add_u32 s10, s10, s19
	s_mul_hi_u32 s14, s15, s16
	s_addc_u32 s10, s17, s18
	s_addc_u32 s14, s14, 0
	s_mul_i32 s16, s15, s16
	s_add_u32 s10, s10, s16
	s_addc_u32 s14, 0, s14
	v_add_co_u32_e32 v1, vcc, s10, v1
	s_cmp_lg_u64 vcc, 0
	s_addc_u32 s16, s15, s14
	s_ashr_i32 s14, s11, 31
	s_add_u32 s10, s7, s14
	s_mov_b32 s15, s14
	s_addc_u32 s11, s11, s14
	s_xor_b64 s[10:11], s[10:11], s[14:15]
	v_readfirstlane_b32 s19, v1
	s_mul_i32 s18, s10, s16
	s_mul_hi_u32 s20, s10, s19
	s_mul_hi_u32 s17, s10, s16
	s_add_u32 s18, s20, s18
	s_addc_u32 s17, 0, s17
	s_mul_hi_u32 s21, s11, s19
	s_mul_i32 s19, s11, s19
	s_add_u32 s18, s18, s19
	s_mul_hi_u32 s20, s11, s16
	s_addc_u32 s17, s17, s21
	s_addc_u32 s18, s20, 0
	s_mul_i32 s16, s11, s16
	s_add_u32 s16, s17, s16
	s_addc_u32 s17, 0, s18
	s_add_u32 s18, s16, 1
	s_addc_u32 s19, s17, 0
	s_add_u32 s20, s16, 2
	s_mul_i32 s23, s12, s17
	s_mul_hi_u32 s24, s12, s16
	s_addc_u32 s21, s17, 0
	s_add_i32 s24, s24, s23
	s_mul_i32 s23, s12, s16
	v_mov_b32_e32 v1, s23
	v_sub_co_u32_e32 v1, vcc, s10, v1
	s_cmp_lg_u64 vcc, 0
	s_subb_u32 s10, s11, s24
	v_subrev_co_u32_e32 v4, vcc, s12, v1
	s_cmp_lg_u64 vcc, 0
	s_subb_u32 s11, s10, 0
	v_readfirstlane_b32 s23, v4
	s_cmp_ge_u32 s23, s12
	s_cselect_b32 s23, -1, 0
	s_cmp_eq_u32 s11, 0
	s_cselect_b32 s11, s23, -1
	s_cmp_lg_u32 s11, 0
	s_cselect_b32 s11, s21, s19
	v_readfirstlane_b32 s19, v1
	s_cselect_b32 s18, s20, s18
	s_cmp_ge_u32 s19, s12
	s_cselect_b32 s19, -1, 0
	s_cmp_eq_u32 s10, 0
	s_cselect_b32 s10, s19, -1
	s_cmp_lg_u32 s10, 0
	s_cselect_b32 s11, s11, s17
	s_cselect_b32 s10, s18, s16
	s_xor_b64 s[10:11], s[10:11], s[14:15]
	s_sub_u32 s10, s10, s14
	s_subb_u32 s11, s11, s14
	s_cbranch_execnz .LBB6_5
.LBB6_4:
	v_cvt_f32_u32_e32 v1, s12
	s_sub_i32 s8, 0, s12
	s_mov_b32 s11, 0
	v_rcp_iflag_f32_e32 v1, v1
	s_nop 0
	v_mul_f32_e32 v1, 0x4f7ffffe, v1
	v_cvt_u32_f32_e32 v1, v1
	s_nop 0
	v_readfirstlane_b32 s9, v1
	s_mul_i32 s8, s8, s9
	s_mul_hi_u32 s8, s9, s8
	s_add_i32 s9, s9, s8
	s_mul_hi_u32 s8, s7, s9
	s_mul_i32 s10, s8, s12
	s_sub_i32 s7, s7, s10
	s_add_i32 s9, s8, 1
	s_sub_i32 s10, s7, s12
	s_cmp_ge_u32 s7, s12
	s_cselect_b32 s8, s9, s8
	s_cselect_b32 s7, s10, s7
	s_add_i32 s9, s8, 1
	s_cmp_ge_u32 s7, s12
	s_cselect_b32 s10, s9, s8
.LBB6_5:
	v_mov_b32_e32 v1, 0
	v_mov_b32_e32 v4, s2
	v_mad_u64_u32 v[16:17], s[8:9], s3, v4, v[0:1]
	s_add_u32 s7, s10, 1
	s_addc_u32 s8, s11, 0
	s_mul_hi_u32 s9, s22, s3
	s_mul_i32 s8, s6, s8
	s_mul_hi_u32 s10, s6, s7
	s_add_i32 s8, s10, s8
	s_mul_i32 s9, s9, s7
	s_add_i32 s9, s8, s9
	s_mul_i32 s8, s6, s7
	s_lshl_b64 s[14:15], s[8:9], 2
	v_cmp_gt_i64_e32 vcc, s[14:15], v[16:17]
	s_and_saveexec_b64 s[8:9], vcc
	s_cbranch_execz .LBB6_26
; %bb.6:
	s_load_dwordx4 s[8:11], s[0:1], 0x38
	s_load_dwordx2 s[16:17], s[0:1], 0x30
	v_mov_b32_e32 v4, v15
	v_mov_b32_e32 v5, v1
	s_mov_b64 s[0:1], 0xdb3d7428
	v_lshl_add_u64 v[18:19], v[4:5], 0, s[0:1]
	s_mov_b64 s[0:1], 0x5384540f
	v_lshl_add_u64 v[20:21], v[14:15], 0, s[0:1]
	;; [unrolled: 2-line block ×7, first 2 shown]
	s_mov_b64 s[0:1], 0x9e3779b9
	v_alignbit_b32 v19, v3, v2, 2
	s_waitcnt lgkmcnt(0)
	s_mov_b32 s11, 0xd2511f53
	v_lshl_add_u64 v[32:33], v[14:15], 0, s[0:1]
	v_mad_u64_u32 v[6:7], s[0:1], v19, s11, 0
	v_xor_b32_e32 v1, v7, v15
	v_xor_b32_e32 v1, v1, v17
	s_mov_b32 s24, 0xcd9e8d57
	v_mad_u64_u32 v[8:9], s[0:1], v1, s24, 0
	v_xor_b32_e32 v1, v32, v9
	v_mad_u64_u32 v[10:11], s[0:1], v16, s24, 0
	v_and_b32_e32 v50, 3, v2
	v_xor_b32_e32 v1, v1, v10
	v_xor_b32_e32 v2, v14, v11
	v_lshrrev_b32_e32 v21, 2, v3
	v_mad_u64_u32 v[12:13], s[0:1], v1, s11, 0
	v_xor_b32_e32 v2, v2, v21
	v_xor_b32_e32 v1, v30, v13
	v_mad_u64_u32 v[2:3], s[0:1], v2, s11, 0
	v_xor_b32_e32 v1, v1, v2
	v_mad_u64_u32 v[10:11], s[0:1], v1, s24, 0
	s_mov_b64 s[0:1], 0xbb67ae85
	s_nop 0
	v_lshl_add_u64 v[34:35], v[4:5], 0, s[0:1]
	v_xor_b32_e32 v2, v34, v3
	v_xor_b32_e32 v2, v2, v6
	v_xor_b32_e32 v1, v28, v11
	v_mad_u64_u32 v[2:3], s[0:1], v2, s24, 0
	v_xor_b32_e32 v1, v1, v2
	v_mad_u64_u32 v[6:7], s[0:1], v1, s11, 0
	s_mov_b64 s[0:1], 0x3c6ef372
	s_nop 0
	v_lshl_add_u64 v[36:37], v[14:15], 0, s[0:1]
	v_xor_b32_e32 v2, v36, v3
	;; [unrolled: 9-line block ×7, first 2 shown]
	v_xor_b32_e32 v1, v1, v12
	v_mad_u64_u32 v[2:3], s[0:1], v1, s24, 0
	s_mov_b64 s[0:1], 0xf1bbcdc8
	v_add_u32_e32 v51, 0x8ff34781, v14
	v_xor_b32_e32 v1, v9, v2
	v_lshl_add_u64 v[48:49], v[14:15], 0, s[0:1]
	v_xor_b32_e32 v2, v51, v1
	v_xor_b32_e32 v1, v48, v3
	v_xor_b32_e32 v1, v1, v10
	v_mad_u64_u32 v[10:11], s[0:1], v1, s11, 0
	v_add_u32_e32 v52, 0x96a522ad, v15
	v_xor_b32_e32 v1, v11, v6
	s_mul_i32 s0, s2, s3
	v_xor_b32_e32 v4, v52, v1
	v_add_u32_e32 v1, s0, v0
	s_mul_i32 s0, s22, s8
	s_mul_i32 s0, s0, s3
	s_lshl_b32 s25, s0, 2
	s_mul_i32 s0, s22, 3
	s_add_i32 s0, s2, s0
	s_mul_i32 s0, s0, s3
	v_mul_lo_u32 v23, s8, v1
	v_add_u32_e32 v1, s0, v0
	s_lshl_b32 s0, s22, 1
	s_add_i32 s0, s2, s0
	s_mul_i32 s0, s0, s3
	v_mul_lo_u32 v25, s8, v1
	v_add_u32_e32 v1, s0, v0
	s_add_i32 s0, s2, s22
	s_mul_i32 s0, s0, s3
	s_mov_b32 s7, 0
	v_add_u32_e32 v0, s0, v0
	v_mov_b32_e32 v3, v8
	v_mov_b32_e32 v5, v10
	s_lshl_b32 s18, s6, 1
	s_mov_b32 s19, s7
	s_mul_i32 s20, s6, 3
	s_mov_b32 s21, s7
	v_mul_lo_u32 v27, s8, v1
	v_mul_lo_u32 v29, s8, v0
	s_mov_b64 s[2:3], 0
	v_mov_b32_e32 v31, 0x2f800000
	v_mov_b32_e32 v33, 0x30c90fdb
	s_mov_b32 s8, 0x800000
	s_mov_b32 s26, 0x3f317217
	s_mov_b32 s27, 0x7f800000
	s_mov_b32 s28, 0xf800000
	v_mov_b32_e32 v35, 0x260
	s_mov_b32 s29, 0x3fb8aa3b
	s_mov_b32 s30, 0xc2ce8ed0
	;; [unrolled: 1-line block ×3, first 2 shown]
	v_mov_b32_e32 v37, 0x4f800000
	v_mov_b32_e32 v39, 0x41b17218
	;; [unrolled: 1-line block ×3, first 2 shown]
	s_mov_b32 s33, s7
	v_mov_b32_e32 v43, v16
	v_mov_b32_e32 v45, v17
	s_branch .LBB6_8
.LBB6_7:                                ;   in Loop: Header=BB6_8 Depth=1
	s_or_b64 exec, exec, s[0:1]
	v_lshl_add_u64 v[16:17], v[16:17], 0, s[12:13]
	v_mov_b32_e32 v9, v0
	s_add_i32 s33, s33, s25
	v_cmp_le_i64_e32 vcc, s[14:15], v[16:17]
	v_mov_b64_e32 v[2:3], v[6:7]
	s_or_b64 s[2:3], vcc, s[2:3]
	v_mov_b64_e32 v[4:5], v[8:9]
	s_barrier
	s_andn2_b64 exec, exec, s[2:3]
	s_cbranch_execz .LBB6_26
.LBB6_8:                                ; =>This Inner Loop Header: Depth=1
	v_add_co_u32_e32 v19, vcc, 1, v19
	s_nop 1
	v_cndmask_b32_e64 v0, 0, 1, vcc
	v_addc_co_u32_e32 v21, vcc, 0, v21, vcc
	v_cmp_eq_u32_e32 vcc, 0, v21
	s_nop 1
	v_cndmask_b32_e32 v0, 0, v0, vcc
	v_add_u32_e32 v43, v0, v43
	v_cmp_eq_u32_e32 vcc, 0, v43
	v_mad_u64_u32 v[6:7], s[0:1], v43, s24, 0
	s_nop 0
	v_cndmask_b32_e32 v0, 0, v0, vcc
	v_add_u32_e32 v45, v0, v45
	v_mad_u64_u32 v[0:1], s[0:1], v19, s11, 0
	v_xor_b32_e32 v1, v1, v15
	v_xor_b32_e32 v7, v7, v14
	v_xor_b32_e32 v1, v45, v1
	v_xor_b32_e32 v7, v21, v7
	v_mad_u64_u32 v[10:11], s[0:1], v1, s24, 0
	v_mad_u64_u32 v[8:9], s[0:1], v7, s11, 0
	v_xor_b32_e32 v1, v32, v11
	v_xor_b32_e32 v1, v1, v6
	v_xor_b32_e32 v6, v34, v9
	v_xor_b32_e32 v6, v6, v0
	v_mad_u64_u32 v[0:1], s[0:1], v1, s11, 0
	;; [unrolled: 6-line block ×9, first 2 shown]
	v_mad_u64_u32 v[12:13], s[0:1], v7, s24, 0
	v_xor_b32_e32 v1, v1, v54
	v_xor_b32_e32 v6, v13, v6
	;; [unrolled: 1-line block ×4, first 2 shown]
	v_mov_b32_e32 v7, v12
	v_mov_b32_e32 v8, v13
	v_cmp_lt_i32_e32 vcc, 1, v50
	s_and_saveexec_b64 s[0:1], vcc
	s_xor_b64 s[0:1], exec, s[0:1]
	s_cbranch_execz .LBB6_14
; %bb.9:                                ;   in Loop: Header=BB6_8 Depth=1
	v_cmp_lt_i32_e32 vcc, 2, v50
	s_and_saveexec_b64 s[22:23], vcc
	s_xor_b64 s[22:23], exec, s[22:23]
; %bb.10:                               ;   in Loop: Header=BB6_8 Depth=1
	v_mov_b32_e32 v10, v5
	v_mov_b32_e32 v11, v6
	v_mov_b64_e32 v[2:3], v[10:11]
	v_mov_b64_e32 v[4:5], v[12:13]
                                        ; implicit-def: $vgpr12_vgpr13
; %bb.11:                               ;   in Loop: Header=BB6_8 Depth=1
	s_andn2_saveexec_b64 s[22:23], s[22:23]
; %bb.12:                               ;   in Loop: Header=BB6_8 Depth=1
	v_mov_b32_e32 v2, v4
	v_mov_b32_e32 v3, v5
	v_mov_b32_e32 v4, v6
	v_mov_b32_e32 v5, v12
; %bb.13:                               ;   in Loop: Header=BB6_8 Depth=1
	s_or_b64 exec, exec, s[22:23]
.LBB6_14:                               ;   in Loop: Header=BB6_8 Depth=1
	s_andn2_saveexec_b64 s[0:1], s[0:1]
	s_cbranch_execz .LBB6_18
; %bb.15:                               ;   in Loop: Header=BB6_8 Depth=1
	v_cmp_eq_u32_e32 vcc, 1, v50
	s_and_saveexec_b64 s[22:23], vcc
; %bb.16:                               ;   in Loop: Header=BB6_8 Depth=1
	v_mov_b32_e32 v2, v3
	v_mov_b32_e32 v3, v4
	;; [unrolled: 1-line block ×4, first 2 shown]
; %bb.17:                               ;   in Loop: Header=BB6_8 Depth=1
	s_or_b64 exec, exec, s[22:23]
.LBB6_18:                               ;   in Loop: Header=BB6_8 Depth=1
	s_or_b64 exec, exec, s[0:1]
	v_cvt_f32_u32_e32 v1, v2
	v_fmamk_f32 v1, v1, 0x2f800000, v31
	v_cmp_gt_f32_e32 vcc, s8, v1
	s_nop 1
	v_cndmask_b32_e32 v2, 1.0, v37, vcc
	v_mul_f32_e32 v1, v1, v2
	v_log_f32_e32 v1, v1
	v_cvt_f32_u32_e32 v2, v3
	v_cndmask_b32_e32 v3, 0, v39, vcc
	v_mul_f32_e32 v9, 0x3f317217, v1
	v_fma_f32 v10, v1, s26, -v9
	v_fmac_f32_e32 v10, 0x3377d1cf, v1
	v_add_f32_e32 v9, v9, v10
	v_cmp_lt_f32_e64 vcc, |v1|, s27
	v_fmamk_f32 v2, v2, 0x30c90fdb, v33
	v_mul_f32_e32 v2, 0.15915494, v2
	v_cndmask_b32_e32 v1, v1, v9, vcc
	v_sub_f32_e32 v1, v1, v3
	v_mul_f32_e32 v1, -2.0, v1
	v_mul_f32_e32 v3, 0x4f800000, v1
	v_cmp_gt_f32_e32 vcc, s28, v1
	s_nop 1
	v_cndmask_b32_e32 v1, v1, v3, vcc
	v_sqrt_f32_e32 v3, v1
	s_nop 0
	v_add_u32_e32 v9, -1, v3
	v_add_u32_e32 v10, 1, v3
	v_fma_f32 v11, -v9, v3, v1
	v_fma_f32 v12, -v10, v3, v1
	v_cmp_ge_f32_e64 s[0:1], 0, v11
	s_nop 1
	v_cndmask_b32_e64 v3, v3, v9, s[0:1]
	v_cmp_lt_f32_e64 s[0:1], 0, v12
	s_nop 1
	v_cndmask_b32_e64 v3, v3, v10, s[0:1]
	v_mul_f32_e32 v9, 0x37800000, v3
	v_cndmask_b32_e32 v3, v3, v9, vcc
	v_cmp_class_f32_e32 vcc, v1, v35
	s_nop 1
	v_cndmask_b32_e32 v1, v3, v1, vcc
	v_cmp_gt_i64_e32 vcc, s[4:5], v[16:17]
	s_and_saveexec_b64 s[0:1], vcc
	s_cbranch_execz .LBB6_20
; %bb.19:                               ;   in Loop: Header=BB6_8 Depth=1
	v_sin_f32_e32 v3, v2
	v_mov_b32_e32 v9, s9
	v_mul_f32_e32 v3, v3, v1
	v_fma_f32 v3, s10, v3, v9
	v_mul_f32_e32 v9, 0x3fb8aa3b, v3
	v_fma_f32 v10, v3, s29, -v9
	v_rndne_f32_e32 v11, v9
	v_fmac_f32_e32 v10, 0x32a5705f, v3
	v_sub_f32_e32 v9, v9, v11
	v_add_f32_e32 v9, v9, v10
	v_exp_f32_e32 v9, v9
	v_cvt_i32_f32_e32 v12, v11
	v_add_u32_e32 v10, s33, v23
	v_cmp_ngt_f32_e32 vcc, s30, v3
	v_ashrrev_i32_e32 v11, 31, v10
	v_ldexp_f32 v9, v9, v12
	v_cndmask_b32_e32 v9, 0, v9, vcc
	v_cmp_nlt_f32_e32 vcc, s31, v3
	v_lshl_add_u64 v[10:11], s[16:17], 0, v[10:11]
	s_nop 0
	v_cndmask_b32_e32 v3, v41, v9, vcc
	global_store_dword v[10:11], v3, off
.LBB6_20:                               ;   in Loop: Header=BB6_8 Depth=1
	s_or_b64 exec, exec, s[0:1]
	v_lshl_add_u64 v[10:11], s[6:7], 0, v[16:17]
	v_cmp_gt_i64_e32 vcc, s[4:5], v[10:11]
	s_and_saveexec_b64 s[0:1], vcc
	s_cbranch_execz .LBB6_22
; %bb.21:                               ;   in Loop: Header=BB6_8 Depth=1
	v_cos_f32_e32 v2, v2
	v_mov_b32_e32 v3, s9
	v_mul_f32_e32 v1, v2, v1
	v_fma_f32 v1, s10, v1, v3
	v_mul_f32_e32 v2, 0x3fb8aa3b, v1
	v_fma_f32 v3, v1, s29, -v2
	v_rndne_f32_e32 v9, v2
	v_fmac_f32_e32 v3, 0x32a5705f, v1
	v_sub_f32_e32 v2, v2, v9
	v_add_f32_e32 v2, v2, v3
	v_exp_f32_e32 v10, v2
	v_cvt_i32_f32_e32 v9, v9
	v_add_u32_e32 v2, s33, v29
	v_cmp_ngt_f32_e32 vcc, s30, v1
	v_ashrrev_i32_e32 v3, 31, v2
	v_ldexp_f32 v9, v10, v9
	v_cndmask_b32_e32 v9, 0, v9, vcc
	v_cmp_nlt_f32_e32 vcc, s31, v1
	v_lshl_add_u64 v[2:3], s[16:17], 0, v[2:3]
	s_nop 0
	v_cndmask_b32_e32 v1, v41, v9, vcc
	global_store_dword v[2:3], v1, off
.LBB6_22:                               ;   in Loop: Header=BB6_8 Depth=1
	s_or_b64 exec, exec, s[0:1]
	v_cvt_f32_u32_e32 v1, v4
	v_fmamk_f32 v1, v1, 0x2f800000, v31
	v_cmp_gt_f32_e32 vcc, s8, v1
	s_nop 1
	v_cndmask_b32_e32 v2, 1.0, v37, vcc
	v_mul_f32_e32 v1, v1, v2
	v_log_f32_e32 v1, v1
	v_cvt_f32_u32_e32 v2, v5
	v_cndmask_b32_e32 v3, 0, v39, vcc
	v_mul_f32_e32 v4, 0x3f317217, v1
	v_fma_f32 v5, v1, s26, -v4
	v_fmac_f32_e32 v5, 0x3377d1cf, v1
	v_add_f32_e32 v4, v4, v5
	v_cmp_lt_f32_e64 vcc, |v1|, s27
	s_nop 1
	v_cndmask_b32_e32 v1, v1, v4, vcc
	v_sub_f32_e32 v1, v1, v3
	v_mul_f32_e32 v1, -2.0, v1
	v_mul_f32_e32 v3, 0x4f800000, v1
	v_cmp_gt_f32_e32 vcc, s28, v1
	v_fmamk_f32 v4, v2, 0x30c90fdb, v33
	s_nop 0
	v_cndmask_b32_e32 v1, v1, v3, vcc
	v_sqrt_f32_e32 v3, v1
	s_nop 0
	v_add_u32_e32 v2, -1, v3
	v_add_u32_e32 v5, 1, v3
	v_fma_f32 v9, -v2, v3, v1
	v_fma_f32 v10, -v5, v3, v1
	v_cmp_ge_f32_e64 s[0:1], 0, v9
	s_nop 1
	v_cndmask_b32_e64 v2, v3, v2, s[0:1]
	v_cmp_lt_f32_e64 s[0:1], 0, v10
	s_nop 1
	v_cndmask_b32_e64 v2, v2, v5, s[0:1]
	v_mul_f32_e32 v3, 0x37800000, v2
	v_cndmask_b32_e32 v2, v2, v3, vcc
	v_cmp_class_f32_e32 vcc, v1, v35
	s_nop 1
	v_cndmask_b32_e32 v1, v2, v1, vcc
	v_lshl_add_u64 v[2:3], s[18:19], 0, v[16:17]
	v_cmp_gt_i64_e32 vcc, s[4:5], v[2:3]
	v_mul_f32_e32 v2, 0.15915494, v4
	s_and_saveexec_b64 s[0:1], vcc
	s_cbranch_execz .LBB6_24
; %bb.23:                               ;   in Loop: Header=BB6_8 Depth=1
	v_sin_f32_e32 v3, v2
	v_mov_b32_e32 v4, s9
	v_mul_f32_e32 v3, v3, v1
	v_fma_f32 v3, s10, v3, v4
	v_mul_f32_e32 v4, 0x3fb8aa3b, v3
	v_fma_f32 v5, v3, s29, -v4
	v_rndne_f32_e32 v9, v4
	v_fmac_f32_e32 v5, 0x32a5705f, v3
	v_sub_f32_e32 v4, v4, v9
	v_add_f32_e32 v4, v4, v5
	v_exp_f32_e32 v10, v4
	v_cvt_i32_f32_e32 v9, v9
	v_add_u32_e32 v4, s33, v27
	v_cmp_ngt_f32_e32 vcc, s30, v3
	v_ashrrev_i32_e32 v5, 31, v4
	v_ldexp_f32 v9, v10, v9
	v_cndmask_b32_e32 v9, 0, v9, vcc
	v_cmp_nlt_f32_e32 vcc, s31, v3
	v_lshl_add_u64 v[4:5], s[16:17], 0, v[4:5]
	s_nop 0
	v_cndmask_b32_e32 v3, v41, v9, vcc
	global_store_dword v[4:5], v3, off
.LBB6_24:                               ;   in Loop: Header=BB6_8 Depth=1
	s_or_b64 exec, exec, s[0:1]
	v_lshl_add_u64 v[4:5], s[20:21], 0, v[16:17]
	v_cmp_gt_i64_e32 vcc, s[4:5], v[4:5]
	s_and_saveexec_b64 s[0:1], vcc
	s_cbranch_execz .LBB6_7
; %bb.25:                               ;   in Loop: Header=BB6_8 Depth=1
	v_cos_f32_e32 v2, v2
	v_mov_b32_e32 v3, s9
	v_mul_f32_e32 v1, v2, v1
	v_fma_f32 v1, s10, v1, v3
	v_mul_f32_e32 v2, 0x3fb8aa3b, v1
	v_fma_f32 v3, v1, s29, -v2
	v_rndne_f32_e32 v4, v2
	v_fmac_f32_e32 v3, 0x32a5705f, v1
	v_sub_f32_e32 v2, v2, v4
	v_add_f32_e32 v2, v2, v3
	v_exp_f32_e32 v5, v2
	v_cvt_i32_f32_e32 v4, v4
	v_add_u32_e32 v2, s33, v25
	v_cmp_ngt_f32_e32 vcc, s30, v1
	v_ashrrev_i32_e32 v3, 31, v2
	v_ldexp_f32 v4, v5, v4
	v_cndmask_b32_e32 v4, 0, v4, vcc
	v_cmp_nlt_f32_e32 vcc, s31, v1
	v_lshl_add_u64 v[2:3], s[16:17], 0, v[2:3]
	s_nop 0
	v_cndmask_b32_e32 v1, v41, v4, vcc
	global_store_dword v[2:3], v1, off
	s_branch .LBB6_7
.LBB6_26:
	s_endpgm
.LBB6_27:
                                        ; implicit-def: $sgpr10_sgpr11
	s_andn2_b64 vcc, exec, s[8:9]
	s_cbranch_vccz .LBB6_4
	s_branch .LBB6_5
	.section	.rodata,"a",@progbits
	.p2align	6, 0x0
	.amdhsa_kernel _ZN2at6native12_GLOBAL__N_143distribution_elementwise_grid_stride_kernelIfLi4EZNS0_9templates4cuda20normal_and_transformIffPNS_17CUDAGeneratorImplEZZZNS4_17log_normal_kernelIS7_EEvRNS_18TensorIteratorBaseEddT_ENKUlvE_clEvENKUlvE0_clEvEUlfE_EEvSA_T1_T2_EUlP25hiprandStatePhilox4_32_10E0_ZNS1_27distribution_nullary_kernelIff15HIP_vector_typeIfLj4EES7_SJ_SE_EEvSA_SG_RKT3_T4_EUlifE_EEvlNS_15PhiloxCudaStateESF_SG_
		.amdhsa_group_segment_fixed_size 0
		.amdhsa_private_segment_fixed_size 0
		.amdhsa_kernarg_size 328
		.amdhsa_user_sgpr_count 2
		.amdhsa_user_sgpr_dispatch_ptr 0
		.amdhsa_user_sgpr_queue_ptr 0
		.amdhsa_user_sgpr_kernarg_segment_ptr 1
		.amdhsa_user_sgpr_dispatch_id 0
		.amdhsa_user_sgpr_kernarg_preload_length 0
		.amdhsa_user_sgpr_kernarg_preload_offset 0
		.amdhsa_user_sgpr_private_segment_size 0
		.amdhsa_uses_dynamic_stack 0
		.amdhsa_enable_private_segment 0
		.amdhsa_system_sgpr_workgroup_id_x 1
		.amdhsa_system_sgpr_workgroup_id_y 0
		.amdhsa_system_sgpr_workgroup_id_z 0
		.amdhsa_system_sgpr_workgroup_info 0
		.amdhsa_system_vgpr_workitem_id 0
		.amdhsa_next_free_vgpr 56
		.amdhsa_next_free_sgpr 34
		.amdhsa_accum_offset 56
		.amdhsa_reserve_vcc 1
		.amdhsa_float_round_mode_32 0
		.amdhsa_float_round_mode_16_64 0
		.amdhsa_float_denorm_mode_32 3
		.amdhsa_float_denorm_mode_16_64 3
		.amdhsa_dx10_clamp 1
		.amdhsa_ieee_mode 1
		.amdhsa_fp16_overflow 0
		.amdhsa_tg_split 0
		.amdhsa_exception_fp_ieee_invalid_op 0
		.amdhsa_exception_fp_denorm_src 0
		.amdhsa_exception_fp_ieee_div_zero 0
		.amdhsa_exception_fp_ieee_overflow 0
		.amdhsa_exception_fp_ieee_underflow 0
		.amdhsa_exception_fp_ieee_inexact 0
		.amdhsa_exception_int_div_zero 0
	.end_amdhsa_kernel
	.section	.text._ZN2at6native12_GLOBAL__N_143distribution_elementwise_grid_stride_kernelIfLi4EZNS0_9templates4cuda20normal_and_transformIffPNS_17CUDAGeneratorImplEZZZNS4_17log_normal_kernelIS7_EEvRNS_18TensorIteratorBaseEddT_ENKUlvE_clEvENKUlvE0_clEvEUlfE_EEvSA_T1_T2_EUlP25hiprandStatePhilox4_32_10E0_ZNS1_27distribution_nullary_kernelIff15HIP_vector_typeIfLj4EES7_SJ_SE_EEvSA_SG_RKT3_T4_EUlifE_EEvlNS_15PhiloxCudaStateESF_SG_,"axG",@progbits,_ZN2at6native12_GLOBAL__N_143distribution_elementwise_grid_stride_kernelIfLi4EZNS0_9templates4cuda20normal_and_transformIffPNS_17CUDAGeneratorImplEZZZNS4_17log_normal_kernelIS7_EEvRNS_18TensorIteratorBaseEddT_ENKUlvE_clEvENKUlvE0_clEvEUlfE_EEvSA_T1_T2_EUlP25hiprandStatePhilox4_32_10E0_ZNS1_27distribution_nullary_kernelIff15HIP_vector_typeIfLj4EES7_SJ_SE_EEvSA_SG_RKT3_T4_EUlifE_EEvlNS_15PhiloxCudaStateESF_SG_,comdat
.Lfunc_end6:
	.size	_ZN2at6native12_GLOBAL__N_143distribution_elementwise_grid_stride_kernelIfLi4EZNS0_9templates4cuda20normal_and_transformIffPNS_17CUDAGeneratorImplEZZZNS4_17log_normal_kernelIS7_EEvRNS_18TensorIteratorBaseEddT_ENKUlvE_clEvENKUlvE0_clEvEUlfE_EEvSA_T1_T2_EUlP25hiprandStatePhilox4_32_10E0_ZNS1_27distribution_nullary_kernelIff15HIP_vector_typeIfLj4EES7_SJ_SE_EEvSA_SG_RKT3_T4_EUlifE_EEvlNS_15PhiloxCudaStateESF_SG_, .Lfunc_end6-_ZN2at6native12_GLOBAL__N_143distribution_elementwise_grid_stride_kernelIfLi4EZNS0_9templates4cuda20normal_and_transformIffPNS_17CUDAGeneratorImplEZZZNS4_17log_normal_kernelIS7_EEvRNS_18TensorIteratorBaseEddT_ENKUlvE_clEvENKUlvE0_clEvEUlfE_EEvSA_T1_T2_EUlP25hiprandStatePhilox4_32_10E0_ZNS1_27distribution_nullary_kernelIff15HIP_vector_typeIfLj4EES7_SJ_SE_EEvSA_SG_RKT3_T4_EUlifE_EEvlNS_15PhiloxCudaStateESF_SG_
                                        ; -- End function
	.section	.AMDGPU.csdata,"",@progbits
; Kernel info:
; codeLenInByte = 3268
; NumSgprs: 40
; NumVgprs: 56
; NumAgprs: 0
; TotalNumVgprs: 56
; ScratchSize: 0
; MemoryBound: 0
; FloatMode: 240
; IeeeMode: 1
; LDSByteSize: 0 bytes/workgroup (compile time only)
; SGPRBlocks: 4
; VGPRBlocks: 6
; NumSGPRsForWavesPerEU: 40
; NumVGPRsForWavesPerEU: 56
; AccumOffset: 56
; Occupancy: 8
; WaveLimiterHint : 0
; COMPUTE_PGM_RSRC2:SCRATCH_EN: 0
; COMPUTE_PGM_RSRC2:USER_SGPR: 2
; COMPUTE_PGM_RSRC2:TRAP_HANDLER: 0
; COMPUTE_PGM_RSRC2:TGID_X_EN: 1
; COMPUTE_PGM_RSRC2:TGID_Y_EN: 0
; COMPUTE_PGM_RSRC2:TGID_Z_EN: 0
; COMPUTE_PGM_RSRC2:TIDIG_COMP_CNT: 0
; COMPUTE_PGM_RSRC3_GFX90A:ACCUM_OFFSET: 13
; COMPUTE_PGM_RSRC3_GFX90A:TG_SPLIT: 0
	.section	.text._ZN2at6native12_GLOBAL__N_143distribution_elementwise_grid_stride_kernelIfLi4EZNS0_9templates4cuda20normal_and_transformIffPNS_17CUDAGeneratorImplEZZZNS4_17log_normal_kernelIS7_EEvRNS_18TensorIteratorBaseEddT_ENKUlvE_clEvENKUlvE0_clEvEUlfE_EEvSA_T1_T2_EUlP25hiprandStatePhilox4_32_10E0_ZNS1_27distribution_nullary_kernelIff15HIP_vector_typeIfLj4EES7_SJ_SE_EEvSA_SG_RKT3_T4_EUlifE0_EEvlNS_15PhiloxCudaStateESF_SG_,"axG",@progbits,_ZN2at6native12_GLOBAL__N_143distribution_elementwise_grid_stride_kernelIfLi4EZNS0_9templates4cuda20normal_and_transformIffPNS_17CUDAGeneratorImplEZZZNS4_17log_normal_kernelIS7_EEvRNS_18TensorIteratorBaseEddT_ENKUlvE_clEvENKUlvE0_clEvEUlfE_EEvSA_T1_T2_EUlP25hiprandStatePhilox4_32_10E0_ZNS1_27distribution_nullary_kernelIff15HIP_vector_typeIfLj4EES7_SJ_SE_EEvSA_SG_RKT3_T4_EUlifE0_EEvlNS_15PhiloxCudaStateESF_SG_,comdat
	.globl	_ZN2at6native12_GLOBAL__N_143distribution_elementwise_grid_stride_kernelIfLi4EZNS0_9templates4cuda20normal_and_transformIffPNS_17CUDAGeneratorImplEZZZNS4_17log_normal_kernelIS7_EEvRNS_18TensorIteratorBaseEddT_ENKUlvE_clEvENKUlvE0_clEvEUlfE_EEvSA_T1_T2_EUlP25hiprandStatePhilox4_32_10E0_ZNS1_27distribution_nullary_kernelIff15HIP_vector_typeIfLj4EES7_SJ_SE_EEvSA_SG_RKT3_T4_EUlifE0_EEvlNS_15PhiloxCudaStateESF_SG_ ; -- Begin function _ZN2at6native12_GLOBAL__N_143distribution_elementwise_grid_stride_kernelIfLi4EZNS0_9templates4cuda20normal_and_transformIffPNS_17CUDAGeneratorImplEZZZNS4_17log_normal_kernelIS7_EEvRNS_18TensorIteratorBaseEddT_ENKUlvE_clEvENKUlvE0_clEvEUlfE_EEvSA_T1_T2_EUlP25hiprandStatePhilox4_32_10E0_ZNS1_27distribution_nullary_kernelIff15HIP_vector_typeIfLj4EES7_SJ_SE_EEvSA_SG_RKT3_T4_EUlifE0_EEvlNS_15PhiloxCudaStateESF_SG_
	.p2align	8
	.type	_ZN2at6native12_GLOBAL__N_143distribution_elementwise_grid_stride_kernelIfLi4EZNS0_9templates4cuda20normal_and_transformIffPNS_17CUDAGeneratorImplEZZZNS4_17log_normal_kernelIS7_EEvRNS_18TensorIteratorBaseEddT_ENKUlvE_clEvENKUlvE0_clEvEUlfE_EEvSA_T1_T2_EUlP25hiprandStatePhilox4_32_10E0_ZNS1_27distribution_nullary_kernelIff15HIP_vector_typeIfLj4EES7_SJ_SE_EEvSA_SG_RKT3_T4_EUlifE0_EEvlNS_15PhiloxCudaStateESF_SG_,@function
_ZN2at6native12_GLOBAL__N_143distribution_elementwise_grid_stride_kernelIfLi4EZNS0_9templates4cuda20normal_and_transformIffPNS_17CUDAGeneratorImplEZZZNS4_17log_normal_kernelIS7_EEvRNS_18TensorIteratorBaseEddT_ENKUlvE_clEvENKUlvE0_clEvEUlfE_EEvSA_T1_T2_EUlP25hiprandStatePhilox4_32_10E0_ZNS1_27distribution_nullary_kernelIff15HIP_vector_typeIfLj4EES7_SJ_SE_EEvSA_SG_RKT3_T4_EUlifE0_EEvlNS_15PhiloxCudaStateESF_SG_: ; @_ZN2at6native12_GLOBAL__N_143distribution_elementwise_grid_stride_kernelIfLi4EZNS0_9templates4cuda20normal_and_transformIffPNS_17CUDAGeneratorImplEZZZNS4_17log_normal_kernelIS7_EEvRNS_18TensorIteratorBaseEddT_ENKUlvE_clEvENKUlvE0_clEvEUlfE_EEvSA_T1_T2_EUlP25hiprandStatePhilox4_32_10E0_ZNS1_27distribution_nullary_kernelIff15HIP_vector_typeIfLj4EES7_SJ_SE_EEvSA_SG_RKT3_T4_EUlifE0_EEvlNS_15PhiloxCudaStateESF_SG_
; %bb.0:
	s_load_dword s3, s[0:1], 0x20
	s_load_dwordx2 s[4:5], s[0:1], 0x10
	s_load_dwordx4 s[20:23], s[0:1], 0x0
	s_mov_b32 s35, 0
	s_waitcnt lgkmcnt(0)
	s_bitcmp0_b32 s3, 0
	v_mov_b64_e32 v[2:3], s[4:5]
	v_mov_b64_e32 v[10:11], s[22:23]
	s_cbranch_scc1 .LBB7_2
; %bb.1:
	v_mov_b64_e32 v[4:5], s[4:5]
	v_mov_b64_e32 v[2:3], s[22:23]
	flat_load_dwordx2 v[6:7], v[4:5]
	flat_load_dwordx2 v[10:11], v[2:3]
	s_load_dwordx2 s[4:5], s[0:1], 0x18
	s_waitcnt vmcnt(0) lgkmcnt(0)
	v_lshl_add_u64 v[2:3], v[6:7], 0, s[4:5]
.LBB7_2:
	s_load_dword s4, s[0:1], 0x154
	s_load_dword s3, s[0:1], 0x148
	s_mov_b32 s6, s35
	s_waitcnt lgkmcnt(0)
	s_and_b32 s8, s4, 0xffff
	s_add_u32 s9, s20, -1
	s_mul_i32 s22, s3, s8
	s_addc_u32 s7, s21, -1
	s_lshl_b32 s34, s22, 2
	s_cmp_lg_u64 s[6:7], 0
	s_mov_b64 s[4:5], -1
	s_cbranch_scc0 .LBB7_83
; %bb.3:
	v_cvt_f32_u32_e32 v1, s34
	v_cvt_f32_ubyte0_e32 v4, 0
	s_sub_u32 s6, 0, s34
	s_subb_u32 s10, 0, 0
	v_fmamk_f32 v1, v4, 0x4f800000, v1
	v_rcp_f32_e32 v1, v1
	s_nop 0
	v_mul_f32_e32 v1, 0x5f7ffffc, v1
	v_mul_f32_e32 v4, 0x2f800000, v1
	v_trunc_f32_e32 v4, v4
	v_fmamk_f32 v1, v4, 0xcf800000, v1
	v_cvt_u32_f32_e32 v4, v4
	v_cvt_u32_f32_e32 v1, v1
	v_readfirstlane_b32 s11, v4
	v_readfirstlane_b32 s12, v1
	s_mul_i32 s13, s6, s11
	s_mul_hi_u32 s15, s6, s12
	s_mul_i32 s14, s10, s12
	s_add_i32 s13, s15, s13
	s_add_i32 s13, s13, s14
	s_mul_i32 s16, s6, s12
	s_mul_hi_u32 s14, s12, s13
	s_mul_i32 s15, s12, s13
	s_mul_hi_u32 s12, s12, s16
	s_add_u32 s12, s12, s15
	s_addc_u32 s14, 0, s14
	s_mul_hi_u32 s17, s11, s16
	s_mul_i32 s16, s11, s16
	s_add_u32 s12, s12, s16
	s_mul_hi_u32 s15, s11, s13
	s_addc_u32 s12, s14, s17
	s_addc_u32 s14, s15, 0
	s_mul_i32 s13, s11, s13
	s_add_u32 s12, s12, s13
	s_addc_u32 s13, 0, s14
	v_add_co_u32_e32 v1, vcc, s12, v1
	s_cmp_lg_u64 vcc, 0
	s_addc_u32 s11, s11, s13
	v_readfirstlane_b32 s13, v1
	s_mul_i32 s12, s6, s11
	s_mul_hi_u32 s14, s6, s13
	s_add_i32 s12, s14, s12
	s_mul_i32 s10, s10, s13
	s_add_i32 s12, s12, s10
	s_mul_i32 s6, s6, s13
	s_mul_hi_u32 s14, s11, s6
	s_mul_i32 s15, s11, s6
	s_mul_i32 s17, s13, s12
	s_mul_hi_u32 s6, s13, s6
	s_mul_hi_u32 s16, s13, s12
	s_add_u32 s6, s6, s17
	s_addc_u32 s13, 0, s16
	s_add_u32 s6, s6, s15
	s_mul_hi_u32 s10, s11, s12
	s_addc_u32 s6, s13, s14
	s_addc_u32 s10, s10, 0
	s_mul_i32 s12, s11, s12
	s_add_u32 s6, s6, s12
	s_addc_u32 s10, 0, s10
	v_add_co_u32_e32 v1, vcc, s6, v1
	s_cmp_lg_u64 vcc, 0
	s_addc_u32 s12, s11, s10
	s_ashr_i32 s10, s7, 31
	s_add_u32 s6, s9, s10
	s_mov_b32 s11, s10
	s_addc_u32 s7, s7, s10
	s_xor_b64 s[6:7], s[6:7], s[10:11]
	v_readfirstlane_b32 s15, v1
	s_mul_i32 s14, s6, s12
	s_mul_hi_u32 s16, s6, s15
	s_mul_hi_u32 s13, s6, s12
	s_add_u32 s14, s16, s14
	s_addc_u32 s13, 0, s13
	s_mul_hi_u32 s17, s7, s15
	s_mul_i32 s15, s7, s15
	s_add_u32 s14, s14, s15
	s_mul_hi_u32 s16, s7, s12
	s_addc_u32 s13, s13, s17
	s_addc_u32 s14, s16, 0
	s_mul_i32 s12, s7, s12
	s_add_u32 s12, s13, s12
	s_addc_u32 s13, 0, s14
	s_add_u32 s14, s12, 1
	s_addc_u32 s15, s13, 0
	s_add_u32 s16, s12, 2
	s_mul_i32 s18, s34, s13
	s_mul_hi_u32 s19, s34, s12
	s_addc_u32 s17, s13, 0
	s_add_i32 s19, s19, s18
	s_mul_i32 s18, s34, s12
	v_mov_b32_e32 v1, s18
	v_sub_co_u32_e32 v1, vcc, s6, v1
	s_cmp_lg_u64 vcc, 0
	s_subb_u32 s6, s7, s19
	v_subrev_co_u32_e32 v4, vcc, s34, v1
	s_cmp_lg_u64 vcc, 0
	s_subb_u32 s7, s6, 0
	v_readfirstlane_b32 s18, v4
	s_cmp_ge_u32 s18, s34
	s_cselect_b32 s18, -1, 0
	s_cmp_eq_u32 s7, 0
	s_cselect_b32 s7, s18, -1
	s_cmp_lg_u32 s7, 0
	s_cselect_b32 s7, s17, s15
	v_readfirstlane_b32 s15, v1
	s_cselect_b32 s14, s16, s14
	s_cmp_ge_u32 s15, s34
	s_cselect_b32 s15, -1, 0
	s_cmp_eq_u32 s6, 0
	s_cselect_b32 s6, s15, -1
	s_cmp_lg_u32 s6, 0
	s_cselect_b32 s7, s7, s13
	s_cselect_b32 s6, s14, s12
	s_xor_b64 s[6:7], s[6:7], s[10:11]
	s_sub_u32 s6, s6, s10
	s_subb_u32 s7, s7, s10
	s_cbranch_execnz .LBB7_5
.LBB7_4:
	v_cvt_f32_u32_e32 v1, s34
	s_sub_i32 s4, 0, s34
	s_mov_b32 s7, 0
	v_rcp_iflag_f32_e32 v1, v1
	s_nop 0
	v_mul_f32_e32 v1, 0x4f7ffffe, v1
	v_cvt_u32_f32_e32 v1, v1
	s_nop 0
	v_readfirstlane_b32 s5, v1
	s_mul_i32 s4, s4, s5
	s_mul_hi_u32 s4, s5, s4
	s_add_i32 s5, s5, s4
	s_mul_hi_u32 s4, s9, s5
	s_mul_i32 s6, s4, s34
	s_sub_i32 s6, s9, s6
	s_add_i32 s5, s4, 1
	s_sub_i32 s9, s6, s34
	s_cmp_ge_u32 s6, s34
	s_cselect_b32 s4, s5, s4
	s_cselect_b32 s6, s9, s6
	s_add_i32 s5, s4, 1
	s_cmp_ge_u32 s6, s34
	s_cselect_b32 s6, s5, s4
.LBB7_5:
	v_mov_b32_e32 v1, 0
	v_mov_b32_e32 v4, s2
	v_mad_u64_u32 v[12:13], s[4:5], s8, v4, v[0:1]
	s_add_u32 s2, s6, 1
	s_addc_u32 s4, s7, 0
	s_mul_hi_u32 s3, s3, s8
	s_mul_i32 s4, s22, s4
	s_mul_hi_u32 s5, s22, s2
	s_add_i32 s4, s5, s4
	s_mul_i32 s3, s3, s2
	s_add_i32 s3, s4, s3
	s_mul_i32 s2, s22, s2
	s_lshl_b64 s[40:41], s[2:3], 2
	v_cmp_gt_i64_e32 vcc, s[40:41], v[12:13]
	s_and_saveexec_b64 s[2:3], vcc
	s_cbranch_execz .LBB7_82
; %bb.6:
	v_mov_b32_e32 v0, v11
	s_mov_b64 s[2:3], 0xdb3d7428
	v_lshl_add_u64 v[14:15], v[0:1], 0, s[2:3]
	s_mov_b64 s[2:3], 0x5384540f
	v_lshl_add_u64 v[16:17], v[10:11], 0, s[2:3]
	;; [unrolled: 2-line block ×7, first 2 shown]
	s_mov_b64 s[2:3], 0x9e3779b9
	v_alignbit_b32 v15, v3, v2, 2
	s_mov_b32 s33, 0xd2511f53
	v_lshl_add_u64 v[28:29], v[10:11], 0, s[2:3]
	v_mad_u64_u32 v[4:5], s[2:3], v15, s33, 0
	v_and_b32_e32 v48, 3, v2
	v_xor_b32_e32 v2, v5, v11
	v_xor_b32_e32 v2, v2, v13
	s_mov_b32 s68, 0xcd9e8d57
	v_mad_u64_u32 v[6:7], s[2:3], v2, s68, 0
	v_xor_b32_e32 v2, v28, v7
	v_mad_u64_u32 v[8:9], s[2:3], v12, s68, 0
	v_xor_b32_e32 v2, v2, v8
	;; [unrolled: 2-line block ×3, first 2 shown]
	v_lshrrev_b32_e32 v17, 2, v3
	v_xor_b32_e32 v2, v2, v17
	v_xor_b32_e32 v5, v26, v37
	v_mad_u64_u32 v[2:3], s[2:3], v2, s33, 0
	v_xor_b32_e32 v2, v5, v2
	v_mad_u64_u32 v[8:9], s[2:3], v2, s68, 0
	s_mov_b64 s[2:3], 0xbb67ae85
	s_nop 0
	v_lshl_add_u64 v[30:31], v[0:1], 0, s[2:3]
	v_xor_b32_e32 v2, v30, v3
	v_xor_b32_e32 v2, v2, v4
	v_xor_b32_e32 v5, v24, v9
	v_mad_u64_u32 v[2:3], s[2:3], v2, s68, 0
	v_xor_b32_e32 v2, v5, v2
	v_mad_u64_u32 v[4:5], s[2:3], v2, s33, 0
	s_mov_b64 s[2:3], 0x3c6ef372
	s_nop 0
	v_lshl_add_u64 v[32:33], v[10:11], 0, s[2:3]
	v_xor_b32_e32 v2, v32, v3
	v_xor_b32_e32 v2, v2, v6
	v_xor_b32_e32 v5, v22, v5
	v_mad_u64_u32 v[2:3], s[2:3], v2, s33, 0
	v_xor_b32_e32 v2, v5, v2
	v_mad_u64_u32 v[6:7], s[2:3], v2, s68, 0
	s_mov_b64 s[2:3], 0x32370b8f
	s_nop 0
	v_lshl_add_u64 v[34:35], v[0:1], 0, s[2:3]
	v_xor_b32_e32 v2, v34, v3
	v_xor_b32_e32 v2, v2, v36
	v_xor_b32_e32 v5, v20, v7
	v_mad_u64_u32 v[2:3], s[2:3], v2, s68, 0
	v_xor_b32_e32 v2, v5, v2
	v_mad_u64_u32 v[44:45], s[2:3], v2, s33, 0
	s_mov_b64 s[2:3], 0x78dde6e4
	s_nop 0
	v_lshl_add_u64 v[36:37], v[10:11], 0, s[2:3]
	v_xor_b32_e32 v2, v36, v3
	v_xor_b32_e32 v2, v2, v8
	v_xor_b32_e32 v5, v18, v45
	v_mad_u64_u32 v[2:3], s[2:3], v2, s33, 0
	v_xor_b32_e32 v2, v5, v2
	v_mad_u64_u32 v[8:9], s[2:3], v2, s68, 0
	s_mov_b64 s[2:3], 0xa9066899
	s_nop 0
	v_lshl_add_u64 v[38:39], v[0:1], 0, s[2:3]
	v_xor_b32_e32 v2, v38, v3
	v_xor_b32_e32 v2, v2, v4
	v_xor_b32_e32 v5, v16, v9
	v_mad_u64_u32 v[2:3], s[2:3], v2, s68, 0
	v_xor_b32_e32 v2, v5, v2
	v_mad_u64_u32 v[46:47], s[2:3], v2, s33, 0
	s_mov_b64 s[2:3], 0xb54cda56
	s_nop 0
	v_lshl_add_u64 v[40:41], v[10:11], 0, s[2:3]
	v_xor_b32_e32 v2, v40, v3
	v_xor_b32_e32 v2, v2, v6
	v_xor_b32_e32 v4, v14, v47
	v_mad_u64_u32 v[2:3], s[2:3], v2, s33, 0
	v_xor_b32_e32 v2, v4, v2
	v_mad_u64_u32 v[52:53], s[2:3], v2, s68, 0
	s_mov_b64 s[2:3], 0x1fd5c5a3
	s_nop 0
	v_lshl_add_u64 v[42:43], v[0:1], 0, s[2:3]
	v_xor_b32_e32 v0, v42, v3
	v_xor_b32_e32 v0, v0, v44
	v_mad_u64_u32 v[0:1], s[2:3], v0, s68, 0
	s_mov_b64 s[2:3], 0xf1bbcdc8
	s_load_dwordx8 s[4:11], s[0:1], 0x30
	v_add_u32_e32 v49, 0x8ff34781, v10
	v_xor_b32_e32 v0, v53, v0
	v_lshl_add_u64 v[44:45], v[10:11], 0, s[2:3]
	v_xor_b32_e32 v4, v49, v0
	v_xor_b32_e32 v0, v44, v1
	v_xor_b32_e32 v0, v0, v8
	s_add_u32 s42, s0, 48
	v_mad_u64_u32 v[0:1], s[2:3], v0, s33, 0
	s_addc_u32 s43, s1, 0
	s_waitcnt lgkmcnt(0)
	s_add_i32 s2, s4, -1
	s_cmp_gt_u32 s2, 1
	s_cselect_b64 s[44:45], -1, 0
	s_cmp_lg_u32 s4, 0
	s_cselect_b64 s[46:47], -1, 0
	s_add_u32 s48, s0, 0xf4
	s_addc_u32 s49, s1, 0
	s_min_u32 s3, s2, 15
	s_cmp_gt_u32 s4, 1
	s_cselect_b64 s[50:51], -1, 0
	s_add_i32 s3, s3, 1
	s_mov_b32 s4, s9
	s_load_dwordx2 s[52:53], s[0:1], 0xf4
	s_load_dwordx4 s[24:27], s[0:1], 0x138
	s_lshl_b32 s54, s22, 1
	s_and_b32 s9, s3, 3
	s_cmp_lg_u32 s2, 2
	s_cselect_b64 s[58:59], -1, 0
	s_and_b32 s11, s3, 28
	s_mov_b32 s23, 0
	v_add_u32_e32 v50, 0x96a522ad, v11
	v_xor_b32_e32 v1, v1, v46
	s_cmp_lg_u32 s9, 0
	v_xor_b32_e32 v6, v50, v1
	v_mov_b32_e32 v5, v52
	v_mov_b32_e32 v7, v0
	s_mov_b32 s55, s23
	s_mul_i32 s56, s22, 3
	s_mov_b32 s57, s23
	s_mov_b64 s[60:61], 0
	s_cselect_b64 s[62:63], -1, 0
	v_mov_b32_e32 v19, 0x2f800000
	v_mov_b32_e32 v21, 0x30c90fdb
	s_mov_b32 s69, 0x800000
	s_mov_b32 s70, 0x3f317217
	;; [unrolled: 1-line block ×4, first 2 shown]
	v_mov_b32_e32 v23, 0x260
	s_mov_b32 s73, 0x3fb8aa3b
	s_mov_b32 s74, 0xc2ce8ed0
	;; [unrolled: 1-line block ×3, first 2 shown]
	v_mov_b32_e32 v25, 0x4f800000
	v_mov_b32_e32 v27, 0x41b17218
	;; [unrolled: 1-line block ×5, first 2 shown]
	s_branch .LBB7_9
.LBB7_7:                                ;   in Loop: Header=BB7_9 Depth=1
	v_mul_f32_e32 v3, 0.15915494, v3
	v_cos_f32_e32 v3, v3
	s_waitcnt lgkmcnt(0)
	v_mov_b32_e32 v5, s26
	v_mul_f32_e32 v3, v3, v8
	v_fma_f32 v3, s27, v3, v5
	v_mul_f32_e32 v5, 0x3fb8aa3b, v3
	v_fma_f32 v6, v3, s73, -v5
	v_rndne_f32_e32 v7, v5
	v_fmac_f32_e32 v6, 0x32a5705f, v3
	v_sub_f32_e32 v5, v5, v7
	v_add_f32_e32 v5, v5, v6
	v_cvt_i32_f32_e32 v6, v7
	v_exp_f32_e32 v5, v5
	v_cmp_ngt_f32_e32 vcc, s74, v3
	v_ldexp_f32 v5, v5, v6
	s_nop 0
	v_cndmask_b32_e32 v5, 0, v5, vcc
	v_cmp_nlt_f32_e32 vcc, s75, v3
	s_nop 1
	v_cndmask_b32_e32 v3, v29, v5, vcc
	global_store_dword v4, v3, s[24:25]
.LBB7_8:                                ;   in Loop: Header=BB7_9 Depth=1
	s_or_b64 exec, exec, s[36:37]
	v_mov_b32_e32 v3, v46
	v_lshl_add_u64 v[12:13], v[12:13], 0, s[34:35]
	v_cmp_le_i64_e32 vcc, s[40:41], v[12:13]
	v_mov_b64_e32 v[6:7], v[2:3]
	s_or_b64 s[60:61], vcc, s[60:61]
	v_mov_b64_e32 v[4:5], v[0:1]
	s_waitcnt lgkmcnt(0)
	s_barrier
	s_andn2_b64 exec, exec, s[60:61]
	s_cbranch_execz .LBB7_82
.LBB7_9:                                ; =>This Loop Header: Depth=1
                                        ;     Child Loop BB7_24 Depth 2
                                        ;     Child Loop BB7_30 Depth 2
	;; [unrolled: 1-line block ×8, first 2 shown]
	v_add_co_u32_e32 v15, vcc, 1, v15
	s_nop 1
	v_cndmask_b32_e64 v0, 0, 1, vcc
	v_addc_co_u32_e32 v17, vcc, 0, v17, vcc
	v_cmp_eq_u32_e32 vcc, 0, v17
	s_nop 1
	v_cndmask_b32_e32 v0, 0, v0, vcc
	v_add_u32_e32 v31, v0, v31
	v_cmp_eq_u32_e32 vcc, 0, v31
	v_mad_u64_u32 v[2:3], s[0:1], v31, s68, 0
	s_nop 0
	v_cndmask_b32_e32 v0, 0, v0, vcc
	v_add_u32_e32 v33, v0, v33
	v_mad_u64_u32 v[0:1], s[0:1], v15, s33, 0
	v_xor_b32_e32 v1, v1, v11
	v_xor_b32_e32 v3, v3, v10
	v_xor_b32_e32 v1, v33, v1
	v_xor_b32_e32 v3, v17, v3
	v_mad_u64_u32 v[46:47], s[0:1], v1, s68, 0
	v_mad_u64_u32 v[8:9], s[0:1], v3, s33, 0
	v_xor_b32_e32 v1, v28, v47
	v_xor_b32_e32 v1, v1, v2
	v_xor_b32_e32 v2, v30, v9
	v_xor_b32_e32 v2, v2, v0
	v_mad_u64_u32 v[0:1], s[0:1], v1, s33, 0
	v_mad_u64_u32 v[2:3], s[0:1], v2, s68, 0
	v_xor_b32_e32 v1, v26, v1
	v_xor_b32_e32 v3, v32, v3
	v_xor_b32_e32 v1, v1, v8
	v_xor_b32_e32 v3, v3, v46
	v_mad_u64_u32 v[46:47], s[0:1], v1, s68, 0
	v_mad_u64_u32 v[8:9], s[0:1], v3, s33, 0
	v_xor_b32_e32 v1, v24, v47
	v_xor_b32_e32 v1, v1, v2
	v_xor_b32_e32 v2, v34, v9
	v_xor_b32_e32 v2, v2, v0
	v_mad_u64_u32 v[0:1], s[0:1], v1, s33, 0
	v_mad_u64_u32 v[2:3], s[0:1], v2, s68, 0
	v_xor_b32_e32 v1, v22, v1
	v_xor_b32_e32 v3, v36, v3
	v_xor_b32_e32 v1, v1, v8
	v_xor_b32_e32 v3, v3, v46
	v_mad_u64_u32 v[46:47], s[0:1], v1, s68, 0
	v_mad_u64_u32 v[8:9], s[0:1], v3, s33, 0
	v_xor_b32_e32 v1, v20, v47
	v_xor_b32_e32 v1, v1, v2
	v_xor_b32_e32 v2, v38, v9
	v_xor_b32_e32 v2, v2, v0
	v_mad_u64_u32 v[0:1], s[0:1], v1, s33, 0
	v_mad_u64_u32 v[2:3], s[0:1], v2, s68, 0
	v_xor_b32_e32 v1, v18, v1
	v_xor_b32_e32 v3, v40, v3
	v_xor_b32_e32 v1, v1, v8
	v_xor_b32_e32 v3, v3, v46
	v_mad_u64_u32 v[46:47], s[0:1], v1, s68, 0
	v_mad_u64_u32 v[8:9], s[0:1], v3, s33, 0
	v_xor_b32_e32 v1, v16, v47
	v_xor_b32_e32 v1, v1, v2
	v_xor_b32_e32 v2, v42, v9
	v_xor_b32_e32 v0, v2, v0
	v_mad_u64_u32 v[2:3], s[0:1], v1, s33, 0
	v_mad_u64_u32 v[0:1], s[0:1], v0, s68, 0
	v_xor_b32_e32 v1, v44, v1
	v_xor_b32_e32 v1, v1, v46
	v_xor_b32_e32 v3, v14, v3
	v_xor_b32_e32 v3, v3, v8
	v_mad_u64_u32 v[46:47], s[0:1], v1, s33, 0
	v_mad_u64_u32 v[8:9], s[0:1], v3, s68, 0
	v_xor_b32_e32 v1, v47, v2
	v_xor_b32_e32 v0, v9, v0
	;; [unrolled: 1-line block ×4, first 2 shown]
	v_mov_b32_e32 v1, v8
	v_mov_b32_e32 v2, v9
	v_cmp_lt_i32_e32 vcc, 1, v48
	s_and_saveexec_b64 s[0:1], vcc
	s_xor_b64 s[0:1], exec, s[0:1]
	s_cbranch_execz .LBB7_15
; %bb.10:                               ;   in Loop: Header=BB7_9 Depth=1
	v_cmp_lt_i32_e32 vcc, 2, v48
	s_and_saveexec_b64 s[2:3], vcc
	s_xor_b64 s[2:3], exec, s[2:3]
; %bb.11:                               ;   in Loop: Header=BB7_9 Depth=1
	v_mov_b32_e32 v6, v7
	v_mov_b32_e32 v7, v0
	v_mov_b64_e32 v[4:5], v[6:7]
	v_mov_b64_e32 v[6:7], v[8:9]
                                        ; implicit-def: $vgpr8_vgpr9
; %bb.12:                               ;   in Loop: Header=BB7_9 Depth=1
	s_andn2_saveexec_b64 s[2:3], s[2:3]
; %bb.13:                               ;   in Loop: Header=BB7_9 Depth=1
	v_mov_b32_e32 v4, v6
	v_mov_b32_e32 v5, v7
	;; [unrolled: 1-line block ×4, first 2 shown]
; %bb.14:                               ;   in Loop: Header=BB7_9 Depth=1
	s_or_b64 exec, exec, s[2:3]
.LBB7_15:                               ;   in Loop: Header=BB7_9 Depth=1
	s_andn2_saveexec_b64 s[0:1], s[0:1]
	s_cbranch_execz .LBB7_19
; %bb.16:                               ;   in Loop: Header=BB7_9 Depth=1
	v_cmp_eq_u32_e32 vcc, 1, v48
	s_and_saveexec_b64 s[2:3], vcc
; %bb.17:                               ;   in Loop: Header=BB7_9 Depth=1
	v_mov_b32_e32 v4, v5
	v_mov_b32_e32 v5, v6
	;; [unrolled: 1-line block ×4, first 2 shown]
; %bb.18:                               ;   in Loop: Header=BB7_9 Depth=1
	s_or_b64 exec, exec, s[2:3]
.LBB7_19:                               ;   in Loop: Header=BB7_9 Depth=1
	s_or_b64 exec, exec, s[0:1]
	v_cvt_f32_u32_e32 v3, v4
	v_fmamk_f32 v3, v3, 0x2f800000, v19
	v_cmp_gt_f32_e32 vcc, s69, v3
	s_nop 1
	v_cndmask_b32_e32 v4, 1.0, v25, vcc
	v_mul_f32_e32 v3, v3, v4
	v_log_f32_e32 v3, v3
	v_cvt_f32_u32_e32 v4, v5
	v_cndmask_b32_e32 v5, 0, v27, vcc
	v_mul_f32_e32 v8, 0x3f317217, v3
	v_fma_f32 v9, v3, s70, -v8
	v_fmac_f32_e32 v9, 0x3377d1cf, v3
	v_add_f32_e32 v8, v8, v9
	v_cmp_lt_f32_e64 vcc, |v3|, s71
	s_nop 1
	v_cndmask_b32_e32 v3, v3, v8, vcc
	v_sub_f32_e32 v3, v3, v5
	v_mul_f32_e32 v3, -2.0, v3
	v_mul_f32_e32 v5, 0x4f800000, v3
	v_cmp_gt_f32_e32 vcc, s72, v3
	s_nop 1
	v_cndmask_b32_e32 v5, v3, v5, vcc
	v_sqrt_f32_e32 v8, v5
	v_fmamk_f32 v3, v4, 0x30c90fdb, v21
	v_add_u32_e32 v4, -1, v8
	v_add_u32_e32 v9, 1, v8
	v_fma_f32 v35, -v4, v8, v5
	v_fma_f32 v37, -v9, v8, v5
	v_cmp_ge_f32_e64 s[0:1], 0, v35
	s_nop 1
	v_cndmask_b32_e64 v4, v8, v4, s[0:1]
	v_cmp_lt_f32_e64 s[0:1], 0, v37
	s_nop 1
	v_cndmask_b32_e64 v4, v4, v9, s[0:1]
	v_mul_f32_e32 v8, 0x37800000, v4
	v_cndmask_b32_e32 v4, v4, v8, vcc
	v_cmp_class_f32_e32 vcc, v5, v23
	s_nop 1
	v_cndmask_b32_e32 v35, v4, v5, vcc
	v_cndmask_b32_e64 v4, 0, 1, s[44:45]
	v_cmp_gt_i64_e32 vcc, s[20:21], v[12:13]
	v_cmp_ne_u32_e64 s[0:1], 1, v4
	s_and_saveexec_b64 s[2:3], vcc
	s_cbranch_execz .LBB7_35
; %bb.20:                               ;   in Loop: Header=BB7_9 Depth=1
	s_and_b64 vcc, exec, s[0:1]
	s_cbranch_vccnz .LBB7_26
; %bb.21:                               ;   in Loop: Header=BB7_9 Depth=1
	s_andn2_b64 vcc, exec, s[46:47]
	s_cbranch_vccnz .LBB7_27
; %bb.22:                               ;   in Loop: Header=BB7_9 Depth=1
	s_mov_b32 s14, 0
	s_andn2_b64 vcc, exec, s[58:59]
	v_mov_b32_e32 v4, 0
	s_cbranch_vccnz .LBB7_28
; %bb.23:                               ;   in Loop: Header=BB7_9 Depth=1
	s_mov_b32 s76, 0
	v_mov_b32_e32 v4, 0
	s_mov_b64 s[64:65], s[42:43]
	s_mov_b64 s[66:67], s[48:49]
	v_mov_b32_e32 v8, v12
.LBB7_24:                               ;   Parent Loop BB7_9 Depth=1
                                        ; =>  This Inner Loop Header: Depth=2
	s_load_dwordx8 s[12:19], s[64:65], 0x4
	s_load_dwordx4 s[28:31], s[64:65], 0x24
	s_load_dwordx4 s[36:39], s[66:67], 0x0
	s_add_u32 s64, s64, 48
	s_addc_u32 s65, s65, 0
	s_waitcnt lgkmcnt(0)
	v_mul_hi_u32 v5, s13, v8
	v_add_u32_e32 v5, v8, v5
	v_lshrrev_b32_e32 v5, s14, v5
	v_mul_lo_u32 v9, v5, s12
	v_mul_hi_u32 v37, s16, v5
	v_sub_u32_e32 v8, v8, v9
	v_add_u32_e32 v9, v5, v37
	v_lshrrev_b32_e32 v9, s17, v9
	v_mul_lo_u32 v37, v9, s15
	v_mul_hi_u32 v39, s19, v9
	v_sub_u32_e32 v5, v5, v37
	v_add_u32_e32 v37, v9, v39
	v_mul_lo_u32 v8, v8, s36
	v_mul_lo_u32 v5, v5, s37
	v_lshrrev_b32_e32 v37, s28, v37
	v_add3_u32 v4, v8, v4, v5
	v_mul_hi_u32 v8, s30, v37
	v_add_u32_e32 v8, v37, v8
	v_mul_lo_u32 v5, v37, s18
	v_lshrrev_b32_e32 v8, s31, v8
	s_add_i32 s76, s76, 4
	v_sub_u32_e32 v5, v9, v5
	v_mul_lo_u32 v9, v8, s29
	s_add_u32 s66, s66, 16
	v_sub_u32_e32 v9, v37, v9
	s_addc_u32 s67, s67, 0
	v_mul_lo_u32 v5, v5, s38
	v_mul_lo_u32 v9, v9, s39
	s_cmp_lg_u32 s11, s76
	v_add3_u32 v4, v5, v4, v9
	s_cbranch_scc1 .LBB7_24
; %bb.25:                               ;   in Loop: Header=BB7_9 Depth=1
	s_mov_b32 s14, s11
	s_andn2_b64 vcc, exec, s[62:63]
	s_cbranch_vccz .LBB7_29
	s_branch .LBB7_31
.LBB7_26:                               ;   in Loop: Header=BB7_9 Depth=1
                                        ; implicit-def: $vgpr4
	s_branch .LBB7_32
.LBB7_27:                               ;   in Loop: Header=BB7_9 Depth=1
	v_mov_b32_e32 v4, 0
	s_branch .LBB7_31
.LBB7_28:                               ;   in Loop: Header=BB7_9 Depth=1
	v_mov_b32_e32 v8, v12
	s_andn2_b64 vcc, exec, s[62:63]
	s_cbranch_vccnz .LBB7_31
.LBB7_29:                               ;   in Loop: Header=BB7_9 Depth=1
	s_lshl_b32 s12, s14, 2
	s_add_u32 s12, s48, s12
	s_addc_u32 s13, s49, 0
	s_mul_i32 s14, s14, 12
	s_add_u32 s14, s42, s14
	s_addc_u32 s15, s43, 0
	s_mov_b32 s16, s9
.LBB7_30:                               ;   Parent Loop BB7_9 Depth=1
                                        ; =>  This Inner Loop Header: Depth=2
	s_load_dwordx2 s[18:19], s[14:15], 0x4
	s_load_dword s17, s[14:15], 0xc
	s_load_dword s28, s[12:13], 0x0
	s_add_u32 s14, s14, 12
	s_addc_u32 s15, s15, 0
	s_waitcnt lgkmcnt(0)
	v_mul_hi_u32 v5, s19, v8
	v_add_u32_e32 v5, v8, v5
	v_lshrrev_b32_e32 v5, s17, v5
	s_add_u32 s12, s12, 4
	v_mul_lo_u32 v9, v5, s18
	s_addc_u32 s13, s13, 0
	s_add_i32 s16, s16, -1
	v_sub_u32_e32 v9, v8, v9
	s_cmp_lg_u32 s16, 0
	v_mov_b32_e32 v8, v5
	v_mad_u64_u32 v[4:5], s[18:19], v9, s28, v[4:5]
	s_cbranch_scc1 .LBB7_30
.LBB7_31:                               ;   in Loop: Header=BB7_9 Depth=1
	s_cbranch_execnz .LBB7_34
.LBB7_32:                               ;   in Loop: Header=BB7_9 Depth=1
	v_mul_hi_u32 v4, v12, s6
	v_add_u32_e32 v4, v4, v12
	v_lshrrev_b32_e32 v5, s7, v4
	v_mul_lo_u32 v4, v5, s5
	v_sub_u32_e32 v4, v12, v4
	s_andn2_b64 vcc, exec, s[50:51]
	s_waitcnt lgkmcnt(0)
	v_mul_lo_u32 v4, v4, s52
	s_cbranch_vccnz .LBB7_34
; %bb.33:                               ;   in Loop: Header=BB7_9 Depth=1
	v_mul_hi_u32 v8, s4, v5
	v_add_u32_e32 v8, v5, v8
	v_lshrrev_b32_e32 v8, s10, v8
	v_mul_lo_u32 v8, v8, s8
	v_sub_u32_e32 v5, v5, v8
	v_mad_u64_u32 v[4:5], s[12:13], v5, s53, v[4:5]
.LBB7_34:                               ;   in Loop: Header=BB7_9 Depth=1
	v_mul_f32_e32 v5, 0.15915494, v3
	v_sin_f32_e32 v5, v5
	s_waitcnt lgkmcnt(0)
	v_mov_b32_e32 v8, s26
	v_mul_f32_e32 v5, v5, v35
	v_fma_f32 v5, s27, v5, v8
	v_mul_f32_e32 v8, 0x3fb8aa3b, v5
	v_fma_f32 v9, v5, s73, -v8
	v_rndne_f32_e32 v37, v8
	v_fmac_f32_e32 v9, 0x32a5705f, v5
	v_sub_f32_e32 v8, v8, v37
	v_add_f32_e32 v8, v8, v9
	v_cvt_i32_f32_e32 v9, v37
	v_exp_f32_e32 v8, v8
	v_cmp_ngt_f32_e32 vcc, s74, v5
	v_ldexp_f32 v8, v8, v9
	s_nop 0
	v_cndmask_b32_e32 v8, 0, v8, vcc
	v_cmp_nlt_f32_e32 vcc, s75, v5
	s_nop 1
	v_cndmask_b32_e32 v5, v29, v8, vcc
	global_store_dword v4, v5, s[24:25]
.LBB7_35:                               ;   in Loop: Header=BB7_9 Depth=1
	s_or_b64 exec, exec, s[2:3]
	v_lshl_add_u64 v[8:9], v[12:13], 0, s[22:23]
	v_cmp_gt_i64_e32 vcc, s[20:21], v[8:9]
	s_and_saveexec_b64 s[2:3], vcc
	s_cbranch_execz .LBB7_51
; %bb.36:                               ;   in Loop: Header=BB7_9 Depth=1
	s_and_b64 vcc, exec, s[0:1]
	s_cbranch_vccnz .LBB7_42
; %bb.37:                               ;   in Loop: Header=BB7_9 Depth=1
	s_andn2_b64 vcc, exec, s[46:47]
	s_cbranch_vccnz .LBB7_43
; %bb.38:                               ;   in Loop: Header=BB7_9 Depth=1
	s_mov_b32 s14, 0
	s_andn2_b64 vcc, exec, s[58:59]
	v_mov_b32_e32 v4, 0
	s_cbranch_vccnz .LBB7_44
; %bb.39:                               ;   in Loop: Header=BB7_9 Depth=1
	s_mov_b32 s76, 0
	v_mov_b32_e32 v4, 0
	s_mov_b64 s[64:65], s[42:43]
	s_mov_b64 s[66:67], s[48:49]
	v_mov_b32_e32 v9, v8
.LBB7_40:                               ;   Parent Loop BB7_9 Depth=1
                                        ; =>  This Inner Loop Header: Depth=2
	s_load_dwordx8 s[12:19], s[64:65], 0x4
	s_load_dwordx4 s[28:31], s[64:65], 0x24
	s_load_dwordx4 s[36:39], s[66:67], 0x0
	s_add_u32 s64, s64, 48
	s_addc_u32 s65, s65, 0
	s_waitcnt lgkmcnt(0)
	v_mul_hi_u32 v5, s13, v9
	v_add_u32_e32 v5, v9, v5
	v_lshrrev_b32_e32 v5, s14, v5
	v_mul_lo_u32 v37, v5, s12
	v_mul_hi_u32 v39, s16, v5
	v_sub_u32_e32 v9, v9, v37
	v_add_u32_e32 v37, v5, v39
	v_lshrrev_b32_e32 v37, s17, v37
	v_mul_lo_u32 v39, v37, s15
	v_mul_hi_u32 v41, s19, v37
	v_sub_u32_e32 v5, v5, v39
	v_add_u32_e32 v39, v37, v41
	v_mul_lo_u32 v9, v9, s36
	v_mul_lo_u32 v5, v5, s37
	v_lshrrev_b32_e32 v39, s28, v39
	v_add3_u32 v4, v9, v4, v5
	v_mul_hi_u32 v9, s30, v39
	v_add_u32_e32 v9, v39, v9
	v_mul_lo_u32 v5, v39, s18
	v_lshrrev_b32_e32 v9, s31, v9
	s_add_i32 s76, s76, 4
	v_sub_u32_e32 v5, v37, v5
	v_mul_lo_u32 v37, v9, s29
	s_add_u32 s66, s66, 16
	v_sub_u32_e32 v37, v39, v37
	s_addc_u32 s67, s67, 0
	v_mul_lo_u32 v5, v5, s38
	v_mul_lo_u32 v37, v37, s39
	s_cmp_eq_u32 s11, s76
	v_add3_u32 v4, v5, v4, v37
	s_cbranch_scc0 .LBB7_40
; %bb.41:                               ;   in Loop: Header=BB7_9 Depth=1
	s_mov_b32 s14, s11
	s_andn2_b64 vcc, exec, s[62:63]
	s_cbranch_vccz .LBB7_45
	s_branch .LBB7_47
.LBB7_42:                               ;   in Loop: Header=BB7_9 Depth=1
                                        ; implicit-def: $vgpr4
	s_branch .LBB7_48
.LBB7_43:                               ;   in Loop: Header=BB7_9 Depth=1
	v_mov_b32_e32 v4, 0
	s_branch .LBB7_47
.LBB7_44:                               ;   in Loop: Header=BB7_9 Depth=1
	v_mov_b32_e32 v9, v8
	s_andn2_b64 vcc, exec, s[62:63]
	s_cbranch_vccnz .LBB7_47
.LBB7_45:                               ;   in Loop: Header=BB7_9 Depth=1
	s_lshl_b32 s12, s14, 2
	s_add_u32 s12, s48, s12
	s_addc_u32 s13, s49, 0
	s_mul_i32 s14, s14, 12
	s_add_u32 s14, s42, s14
	s_addc_u32 s15, s43, 0
	s_mov_b32 s16, s9
.LBB7_46:                               ;   Parent Loop BB7_9 Depth=1
                                        ; =>  This Inner Loop Header: Depth=2
	s_load_dwordx2 s[18:19], s[14:15], 0x4
	s_load_dword s17, s[14:15], 0xc
	s_load_dword s28, s[12:13], 0x0
	s_add_u32 s14, s14, 12
	s_addc_u32 s15, s15, 0
	s_waitcnt lgkmcnt(0)
	v_mul_hi_u32 v5, s19, v9
	v_add_u32_e32 v5, v9, v5
	v_lshrrev_b32_e32 v5, s17, v5
	s_add_u32 s12, s12, 4
	v_mul_lo_u32 v37, v5, s18
	s_addc_u32 s13, s13, 0
	s_add_i32 s16, s16, -1
	v_sub_u32_e32 v37, v9, v37
	s_cmp_lg_u32 s16, 0
	v_mov_b32_e32 v9, v5
	v_mad_u64_u32 v[4:5], s[18:19], v37, s28, v[4:5]
	s_cbranch_scc1 .LBB7_46
.LBB7_47:                               ;   in Loop: Header=BB7_9 Depth=1
	s_cbranch_execnz .LBB7_50
.LBB7_48:                               ;   in Loop: Header=BB7_9 Depth=1
	v_mul_hi_u32 v4, v8, s6
	v_add_u32_e32 v4, v4, v8
	v_lshrrev_b32_e32 v5, s7, v4
	v_mul_lo_u32 v4, v5, s5
	v_sub_u32_e32 v4, v8, v4
	s_andn2_b64 vcc, exec, s[50:51]
	s_waitcnt lgkmcnt(0)
	v_mul_lo_u32 v4, v4, s52
	s_cbranch_vccnz .LBB7_50
; %bb.49:                               ;   in Loop: Header=BB7_9 Depth=1
	v_mul_hi_u32 v8, s4, v5
	v_add_u32_e32 v8, v5, v8
	v_lshrrev_b32_e32 v8, s10, v8
	v_mul_lo_u32 v8, v8, s8
	v_sub_u32_e32 v5, v5, v8
	v_mad_u64_u32 v[4:5], s[12:13], v5, s53, v[4:5]
.LBB7_50:                               ;   in Loop: Header=BB7_9 Depth=1
	v_mul_f32_e32 v3, 0.15915494, v3
	v_cos_f32_e32 v3, v3
	s_waitcnt lgkmcnt(0)
	v_mov_b32_e32 v5, s26
	v_mul_f32_e32 v3, v3, v35
	v_fma_f32 v3, s27, v3, v5
	v_mul_f32_e32 v5, 0x3fb8aa3b, v3
	v_fma_f32 v8, v3, s73, -v5
	v_rndne_f32_e32 v9, v5
	v_fmac_f32_e32 v8, 0x32a5705f, v3
	v_sub_f32_e32 v5, v5, v9
	v_add_f32_e32 v5, v5, v8
	v_cvt_i32_f32_e32 v8, v9
	v_exp_f32_e32 v5, v5
	v_cmp_ngt_f32_e32 vcc, s74, v3
	v_ldexp_f32 v5, v5, v8
	s_nop 0
	v_cndmask_b32_e32 v5, 0, v5, vcc
	v_cmp_nlt_f32_e32 vcc, s75, v3
	s_nop 1
	v_cndmask_b32_e32 v3, v29, v5, vcc
	global_store_dword v4, v3, s[24:25]
.LBB7_51:                               ;   in Loop: Header=BB7_9 Depth=1
	s_or_b64 exec, exec, s[2:3]
	v_cvt_f32_u32_e32 v3, v6
	v_fmamk_f32 v3, v3, 0x2f800000, v19
	v_cmp_gt_f32_e32 vcc, s69, v3
	s_nop 1
	v_cndmask_b32_e32 v4, 1.0, v25, vcc
	v_mul_f32_e32 v3, v3, v4
	v_log_f32_e32 v3, v3
	v_cvt_f32_u32_e32 v4, v7
	v_cndmask_b32_e32 v5, 0, v27, vcc
	v_mul_f32_e32 v6, 0x3f317217, v3
	v_fma_f32 v7, v3, s70, -v6
	v_fmac_f32_e32 v7, 0x3377d1cf, v3
	v_add_f32_e32 v6, v6, v7
	v_cmp_lt_f32_e64 vcc, |v3|, s71
	s_nop 1
	v_cndmask_b32_e32 v3, v3, v6, vcc
	v_sub_f32_e32 v3, v3, v5
	v_mul_f32_e32 v3, -2.0, v3
	v_mul_f32_e32 v5, 0x4f800000, v3
	v_cmp_gt_f32_e32 vcc, s72, v3
	s_nop 1
	v_cndmask_b32_e32 v5, v3, v5, vcc
	v_sqrt_f32_e32 v6, v5
	v_fmamk_f32 v3, v4, 0x30c90fdb, v21
	v_add_u32_e32 v4, -1, v6
	v_add_u32_e32 v7, 1, v6
	v_fma_f32 v8, -v4, v6, v5
	v_fma_f32 v9, -v7, v6, v5
	v_cmp_ge_f32_e64 s[2:3], 0, v8
	s_nop 1
	v_cndmask_b32_e64 v4, v6, v4, s[2:3]
	v_cmp_lt_f32_e64 s[2:3], 0, v9
	s_nop 1
	v_cndmask_b32_e64 v4, v4, v7, s[2:3]
	v_mul_f32_e32 v6, 0x37800000, v4
	v_cndmask_b32_e32 v4, v4, v6, vcc
	v_cmp_class_f32_e32 vcc, v5, v23
	v_lshl_add_u64 v[6:7], v[12:13], 0, s[54:55]
	s_nop 0
	v_cndmask_b32_e32 v8, v4, v5, vcc
	v_cmp_gt_i64_e32 vcc, s[20:21], v[6:7]
	s_and_saveexec_b64 s[2:3], vcc
	s_cbranch_execz .LBB7_67
; %bb.52:                               ;   in Loop: Header=BB7_9 Depth=1
	s_and_b64 vcc, exec, s[0:1]
	s_cbranch_vccnz .LBB7_58
; %bb.53:                               ;   in Loop: Header=BB7_9 Depth=1
	s_andn2_b64 vcc, exec, s[46:47]
	s_cbranch_vccnz .LBB7_59
; %bb.54:                               ;   in Loop: Header=BB7_9 Depth=1
	s_mov_b32 s14, 0
	s_andn2_b64 vcc, exec, s[58:59]
	v_mov_b32_e32 v4, 0
	s_cbranch_vccnz .LBB7_60
; %bb.55:                               ;   in Loop: Header=BB7_9 Depth=1
	s_mov_b32 s76, 0
	v_mov_b32_e32 v4, 0
	s_mov_b64 s[64:65], s[42:43]
	s_mov_b64 s[66:67], s[48:49]
	v_mov_b32_e32 v7, v6
.LBB7_56:                               ;   Parent Loop BB7_9 Depth=1
                                        ; =>  This Inner Loop Header: Depth=2
	s_load_dwordx8 s[12:19], s[64:65], 0x4
	s_load_dwordx4 s[28:31], s[64:65], 0x24
	s_load_dwordx4 s[36:39], s[66:67], 0x0
	s_add_u32 s64, s64, 48
	s_addc_u32 s65, s65, 0
	s_waitcnt lgkmcnt(0)
	v_mul_hi_u32 v5, s13, v7
	v_add_u32_e32 v5, v7, v5
	v_lshrrev_b32_e32 v5, s14, v5
	v_mul_lo_u32 v9, v5, s12
	v_mul_hi_u32 v35, s16, v5
	v_sub_u32_e32 v7, v7, v9
	v_add_u32_e32 v9, v5, v35
	v_lshrrev_b32_e32 v9, s17, v9
	v_mul_lo_u32 v35, v9, s15
	v_mul_hi_u32 v37, s19, v9
	v_sub_u32_e32 v5, v5, v35
	v_add_u32_e32 v35, v9, v37
	v_mul_lo_u32 v7, v7, s36
	v_mul_lo_u32 v5, v5, s37
	v_lshrrev_b32_e32 v35, s28, v35
	v_add3_u32 v4, v7, v4, v5
	v_mul_hi_u32 v7, s30, v35
	v_add_u32_e32 v7, v35, v7
	v_mul_lo_u32 v5, v35, s18
	v_lshrrev_b32_e32 v7, s31, v7
	s_add_i32 s76, s76, 4
	v_sub_u32_e32 v5, v9, v5
	v_mul_lo_u32 v9, v7, s29
	s_add_u32 s66, s66, 16
	v_sub_u32_e32 v9, v35, v9
	s_addc_u32 s67, s67, 0
	v_mul_lo_u32 v5, v5, s38
	v_mul_lo_u32 v9, v9, s39
	s_cmp_eq_u32 s11, s76
	v_add3_u32 v4, v5, v4, v9
	s_cbranch_scc0 .LBB7_56
; %bb.57:                               ;   in Loop: Header=BB7_9 Depth=1
	s_mov_b32 s14, s11
	s_andn2_b64 vcc, exec, s[62:63]
	s_cbranch_vccz .LBB7_61
	s_branch .LBB7_63
.LBB7_58:                               ;   in Loop: Header=BB7_9 Depth=1
                                        ; implicit-def: $vgpr4
	s_branch .LBB7_64
.LBB7_59:                               ;   in Loop: Header=BB7_9 Depth=1
	v_mov_b32_e32 v4, 0
	s_branch .LBB7_63
.LBB7_60:                               ;   in Loop: Header=BB7_9 Depth=1
	v_mov_b32_e32 v7, v6
	s_andn2_b64 vcc, exec, s[62:63]
	s_cbranch_vccnz .LBB7_63
.LBB7_61:                               ;   in Loop: Header=BB7_9 Depth=1
	s_lshl_b32 s12, s14, 2
	s_add_u32 s12, s48, s12
	s_addc_u32 s13, s49, 0
	s_mul_i32 s14, s14, 12
	s_add_u32 s14, s42, s14
	s_addc_u32 s15, s43, 0
	s_mov_b32 s16, s9
.LBB7_62:                               ;   Parent Loop BB7_9 Depth=1
                                        ; =>  This Inner Loop Header: Depth=2
	s_load_dwordx2 s[18:19], s[14:15], 0x4
	s_load_dword s17, s[14:15], 0xc
	s_load_dword s28, s[12:13], 0x0
	s_add_u32 s14, s14, 12
	s_addc_u32 s15, s15, 0
	s_waitcnt lgkmcnt(0)
	v_mul_hi_u32 v5, s19, v7
	v_add_u32_e32 v5, v7, v5
	v_lshrrev_b32_e32 v5, s17, v5
	s_add_u32 s12, s12, 4
	v_mul_lo_u32 v9, v5, s18
	s_addc_u32 s13, s13, 0
	s_add_i32 s16, s16, -1
	v_sub_u32_e32 v9, v7, v9
	s_cmp_lg_u32 s16, 0
	v_mov_b32_e32 v7, v5
	v_mad_u64_u32 v[4:5], s[18:19], v9, s28, v[4:5]
	s_cbranch_scc1 .LBB7_62
.LBB7_63:                               ;   in Loop: Header=BB7_9 Depth=1
	s_cbranch_execnz .LBB7_66
.LBB7_64:                               ;   in Loop: Header=BB7_9 Depth=1
	v_mul_hi_u32 v4, v6, s6
	v_add_u32_e32 v4, v4, v6
	v_lshrrev_b32_e32 v5, s7, v4
	v_mul_lo_u32 v4, v5, s5
	v_sub_u32_e32 v4, v6, v4
	s_andn2_b64 vcc, exec, s[50:51]
	s_waitcnt lgkmcnt(0)
	v_mul_lo_u32 v4, v4, s52
	s_cbranch_vccnz .LBB7_66
; %bb.65:                               ;   in Loop: Header=BB7_9 Depth=1
	v_mul_hi_u32 v6, s4, v5
	v_add_u32_e32 v6, v5, v6
	v_lshrrev_b32_e32 v6, s10, v6
	v_mul_lo_u32 v6, v6, s8
	v_sub_u32_e32 v5, v5, v6
	v_mad_u64_u32 v[4:5], s[12:13], v5, s53, v[4:5]
.LBB7_66:                               ;   in Loop: Header=BB7_9 Depth=1
	v_mul_f32_e32 v5, 0.15915494, v3
	v_sin_f32_e32 v5, v5
	s_waitcnt lgkmcnt(0)
	v_mov_b32_e32 v6, s26
	v_mul_f32_e32 v5, v5, v8
	v_fma_f32 v5, s27, v5, v6
	v_mul_f32_e32 v6, 0x3fb8aa3b, v5
	v_fma_f32 v7, v5, s73, -v6
	v_rndne_f32_e32 v9, v6
	v_fmac_f32_e32 v7, 0x32a5705f, v5
	v_sub_f32_e32 v6, v6, v9
	v_add_f32_e32 v6, v6, v7
	v_cvt_i32_f32_e32 v7, v9
	v_exp_f32_e32 v6, v6
	v_cmp_ngt_f32_e32 vcc, s74, v5
	v_ldexp_f32 v6, v6, v7
	s_nop 0
	v_cndmask_b32_e32 v6, 0, v6, vcc
	v_cmp_nlt_f32_e32 vcc, s75, v5
	s_nop 1
	v_cndmask_b32_e32 v5, v29, v6, vcc
	global_store_dword v4, v5, s[24:25]
.LBB7_67:                               ;   in Loop: Header=BB7_9 Depth=1
	s_or_b64 exec, exec, s[2:3]
	v_lshl_add_u64 v[6:7], v[12:13], 0, s[56:57]
	v_cmp_gt_i64_e32 vcc, s[20:21], v[6:7]
	s_and_saveexec_b64 s[36:37], vcc
	s_cbranch_execz .LBB7_8
; %bb.68:                               ;   in Loop: Header=BB7_9 Depth=1
	s_and_b64 vcc, exec, s[0:1]
	s_cbranch_vccnz .LBB7_74
; %bb.69:                               ;   in Loop: Header=BB7_9 Depth=1
	s_andn2_b64 vcc, exec, s[46:47]
	s_cbranch_vccnz .LBB7_75
; %bb.70:                               ;   in Loop: Header=BB7_9 Depth=1
	s_mov_b32 s2, 0
	s_andn2_b64 vcc, exec, s[58:59]
	v_mov_b32_e32 v4, 0
	s_cbranch_vccnz .LBB7_76
; %bb.71:                               ;   in Loop: Header=BB7_9 Depth=1
	s_mov_b32 s66, 0
	v_mov_b32_e32 v4, 0
	s_mov_b64 s[38:39], s[42:43]
	s_mov_b64 s[64:65], s[48:49]
	v_mov_b32_e32 v7, v6
.LBB7_72:                               ;   Parent Loop BB7_9 Depth=1
                                        ; =>  This Inner Loop Header: Depth=2
	s_load_dwordx8 s[12:19], s[38:39], 0x4
	s_load_dwordx4 s[0:3], s[38:39], 0x24
	s_load_dwordx4 s[28:31], s[64:65], 0x0
	s_add_u32 s38, s38, 48
	s_addc_u32 s39, s39, 0
	s_waitcnt lgkmcnt(0)
	v_mul_hi_u32 v5, s13, v7
	v_add_u32_e32 v5, v7, v5
	v_lshrrev_b32_e32 v5, s14, v5
	v_mul_lo_u32 v9, v5, s12
	v_mul_hi_u32 v35, s16, v5
	v_sub_u32_e32 v7, v7, v9
	v_add_u32_e32 v9, v5, v35
	v_lshrrev_b32_e32 v9, s17, v9
	v_mul_lo_u32 v35, v9, s15
	v_mul_hi_u32 v37, s19, v9
	v_sub_u32_e32 v5, v5, v35
	v_add_u32_e32 v35, v9, v37
	v_mul_lo_u32 v7, v7, s28
	v_mul_lo_u32 v5, v5, s29
	v_lshrrev_b32_e32 v35, s0, v35
	v_add3_u32 v4, v7, v4, v5
	v_mul_hi_u32 v7, s2, v35
	v_add_u32_e32 v7, v35, v7
	v_mul_lo_u32 v5, v35, s18
	v_lshrrev_b32_e32 v7, s3, v7
	s_add_i32 s66, s66, 4
	v_sub_u32_e32 v5, v9, v5
	v_mul_lo_u32 v9, v7, s1
	s_add_u32 s64, s64, 16
	v_sub_u32_e32 v9, v35, v9
	s_addc_u32 s65, s65, 0
	v_mul_lo_u32 v5, v5, s30
	v_mul_lo_u32 v9, v9, s31
	s_cmp_eq_u32 s11, s66
	v_add3_u32 v4, v5, v4, v9
	s_cbranch_scc0 .LBB7_72
; %bb.73:                               ;   in Loop: Header=BB7_9 Depth=1
	s_mov_b32 s2, s11
	s_andn2_b64 vcc, exec, s[62:63]
	s_cbranch_vccz .LBB7_77
	s_branch .LBB7_79
.LBB7_74:                               ;   in Loop: Header=BB7_9 Depth=1
                                        ; implicit-def: $vgpr4
	s_branch .LBB7_80
.LBB7_75:                               ;   in Loop: Header=BB7_9 Depth=1
	v_mov_b32_e32 v4, 0
	s_branch .LBB7_79
.LBB7_76:                               ;   in Loop: Header=BB7_9 Depth=1
	v_mov_b32_e32 v7, v6
	s_andn2_b64 vcc, exec, s[62:63]
	s_cbranch_vccnz .LBB7_79
.LBB7_77:                               ;   in Loop: Header=BB7_9 Depth=1
	s_lshl_b32 s0, s2, 2
	s_add_u32 s0, s48, s0
	s_addc_u32 s1, s49, 0
	s_mul_i32 s2, s2, 12
	s_add_u32 s2, s42, s2
	s_addc_u32 s3, s43, 0
	s_mov_b32 s12, s9
.LBB7_78:                               ;   Parent Loop BB7_9 Depth=1
                                        ; =>  This Inner Loop Header: Depth=2
	s_load_dwordx2 s[14:15], s[2:3], 0x4
	s_load_dword s13, s[2:3], 0xc
	s_load_dword s16, s[0:1], 0x0
	s_add_u32 s2, s2, 12
	s_addc_u32 s3, s3, 0
	s_waitcnt lgkmcnt(0)
	v_mul_hi_u32 v5, s15, v7
	v_add_u32_e32 v5, v7, v5
	v_lshrrev_b32_e32 v5, s13, v5
	s_add_u32 s0, s0, 4
	v_mul_lo_u32 v9, v5, s14
	s_addc_u32 s1, s1, 0
	s_add_i32 s12, s12, -1
	v_sub_u32_e32 v9, v7, v9
	s_cmp_lg_u32 s12, 0
	v_mov_b32_e32 v7, v5
	v_mad_u64_u32 v[4:5], s[14:15], v9, s16, v[4:5]
	s_cbranch_scc1 .LBB7_78
.LBB7_79:                               ;   in Loop: Header=BB7_9 Depth=1
	s_cbranch_execnz .LBB7_7
.LBB7_80:                               ;   in Loop: Header=BB7_9 Depth=1
	v_mul_hi_u32 v4, v6, s6
	v_add_u32_e32 v4, v4, v6
	v_lshrrev_b32_e32 v5, s7, v4
	v_mul_lo_u32 v4, v5, s5
	v_sub_u32_e32 v4, v6, v4
	s_andn2_b64 vcc, exec, s[50:51]
	s_waitcnt lgkmcnt(0)
	v_mul_lo_u32 v4, v4, s52
	s_cbranch_vccnz .LBB7_7
; %bb.81:                               ;   in Loop: Header=BB7_9 Depth=1
	v_mul_hi_u32 v6, s4, v5
	v_add_u32_e32 v6, v5, v6
	v_lshrrev_b32_e32 v6, s10, v6
	v_mul_lo_u32 v6, v6, s8
	v_sub_u32_e32 v5, v5, v6
	v_mad_u64_u32 v[4:5], s[0:1], v5, s53, v[4:5]
	s_branch .LBB7_7
.LBB7_82:
	s_endpgm
.LBB7_83:
                                        ; implicit-def: $sgpr6_sgpr7
	s_andn2_b64 vcc, exec, s[4:5]
	s_cbranch_vccz .LBB7_4
	s_branch .LBB7_5
	.section	.rodata,"a",@progbits
	.p2align	6, 0x0
	.amdhsa_kernel _ZN2at6native12_GLOBAL__N_143distribution_elementwise_grid_stride_kernelIfLi4EZNS0_9templates4cuda20normal_and_transformIffPNS_17CUDAGeneratorImplEZZZNS4_17log_normal_kernelIS7_EEvRNS_18TensorIteratorBaseEddT_ENKUlvE_clEvENKUlvE0_clEvEUlfE_EEvSA_T1_T2_EUlP25hiprandStatePhilox4_32_10E0_ZNS1_27distribution_nullary_kernelIff15HIP_vector_typeIfLj4EES7_SJ_SE_EEvSA_SG_RKT3_T4_EUlifE0_EEvlNS_15PhiloxCudaStateESF_SG_
		.amdhsa_group_segment_fixed_size 0
		.amdhsa_private_segment_fixed_size 0
		.amdhsa_kernarg_size 584
		.amdhsa_user_sgpr_count 2
		.amdhsa_user_sgpr_dispatch_ptr 0
		.amdhsa_user_sgpr_queue_ptr 0
		.amdhsa_user_sgpr_kernarg_segment_ptr 1
		.amdhsa_user_sgpr_dispatch_id 0
		.amdhsa_user_sgpr_kernarg_preload_length 0
		.amdhsa_user_sgpr_kernarg_preload_offset 0
		.amdhsa_user_sgpr_private_segment_size 0
		.amdhsa_uses_dynamic_stack 0
		.amdhsa_enable_private_segment 0
		.amdhsa_system_sgpr_workgroup_id_x 1
		.amdhsa_system_sgpr_workgroup_id_y 0
		.amdhsa_system_sgpr_workgroup_id_z 0
		.amdhsa_system_sgpr_workgroup_info 0
		.amdhsa_system_vgpr_workitem_id 0
		.amdhsa_next_free_vgpr 54
		.amdhsa_next_free_sgpr 77
		.amdhsa_accum_offset 56
		.amdhsa_reserve_vcc 1
		.amdhsa_float_round_mode_32 0
		.amdhsa_float_round_mode_16_64 0
		.amdhsa_float_denorm_mode_32 3
		.amdhsa_float_denorm_mode_16_64 3
		.amdhsa_dx10_clamp 1
		.amdhsa_ieee_mode 1
		.amdhsa_fp16_overflow 0
		.amdhsa_tg_split 0
		.amdhsa_exception_fp_ieee_invalid_op 0
		.amdhsa_exception_fp_denorm_src 0
		.amdhsa_exception_fp_ieee_div_zero 0
		.amdhsa_exception_fp_ieee_overflow 0
		.amdhsa_exception_fp_ieee_underflow 0
		.amdhsa_exception_fp_ieee_inexact 0
		.amdhsa_exception_int_div_zero 0
	.end_amdhsa_kernel
	.section	.text._ZN2at6native12_GLOBAL__N_143distribution_elementwise_grid_stride_kernelIfLi4EZNS0_9templates4cuda20normal_and_transformIffPNS_17CUDAGeneratorImplEZZZNS4_17log_normal_kernelIS7_EEvRNS_18TensorIteratorBaseEddT_ENKUlvE_clEvENKUlvE0_clEvEUlfE_EEvSA_T1_T2_EUlP25hiprandStatePhilox4_32_10E0_ZNS1_27distribution_nullary_kernelIff15HIP_vector_typeIfLj4EES7_SJ_SE_EEvSA_SG_RKT3_T4_EUlifE0_EEvlNS_15PhiloxCudaStateESF_SG_,"axG",@progbits,_ZN2at6native12_GLOBAL__N_143distribution_elementwise_grid_stride_kernelIfLi4EZNS0_9templates4cuda20normal_and_transformIffPNS_17CUDAGeneratorImplEZZZNS4_17log_normal_kernelIS7_EEvRNS_18TensorIteratorBaseEddT_ENKUlvE_clEvENKUlvE0_clEvEUlfE_EEvSA_T1_T2_EUlP25hiprandStatePhilox4_32_10E0_ZNS1_27distribution_nullary_kernelIff15HIP_vector_typeIfLj4EES7_SJ_SE_EEvSA_SG_RKT3_T4_EUlifE0_EEvlNS_15PhiloxCudaStateESF_SG_,comdat
.Lfunc_end7:
	.size	_ZN2at6native12_GLOBAL__N_143distribution_elementwise_grid_stride_kernelIfLi4EZNS0_9templates4cuda20normal_and_transformIffPNS_17CUDAGeneratorImplEZZZNS4_17log_normal_kernelIS7_EEvRNS_18TensorIteratorBaseEddT_ENKUlvE_clEvENKUlvE0_clEvEUlfE_EEvSA_T1_T2_EUlP25hiprandStatePhilox4_32_10E0_ZNS1_27distribution_nullary_kernelIff15HIP_vector_typeIfLj4EES7_SJ_SE_EEvSA_SG_RKT3_T4_EUlifE0_EEvlNS_15PhiloxCudaStateESF_SG_, .Lfunc_end7-_ZN2at6native12_GLOBAL__N_143distribution_elementwise_grid_stride_kernelIfLi4EZNS0_9templates4cuda20normal_and_transformIffPNS_17CUDAGeneratorImplEZZZNS4_17log_normal_kernelIS7_EEvRNS_18TensorIteratorBaseEddT_ENKUlvE_clEvENKUlvE0_clEvEUlfE_EEvSA_T1_T2_EUlP25hiprandStatePhilox4_32_10E0_ZNS1_27distribution_nullary_kernelIff15HIP_vector_typeIfLj4EES7_SJ_SE_EEvSA_SG_RKT3_T4_EUlifE0_EEvlNS_15PhiloxCudaStateESF_SG_
                                        ; -- End function
	.section	.AMDGPU.csdata,"",@progbits
; Kernel info:
; codeLenInByte = 5324
; NumSgprs: 83
; NumVgprs: 54
; NumAgprs: 0
; TotalNumVgprs: 54
; ScratchSize: 0
; MemoryBound: 0
; FloatMode: 240
; IeeeMode: 1
; LDSByteSize: 0 bytes/workgroup (compile time only)
; SGPRBlocks: 10
; VGPRBlocks: 6
; NumSGPRsForWavesPerEU: 83
; NumVGPRsForWavesPerEU: 54
; AccumOffset: 56
; Occupancy: 8
; WaveLimiterHint : 1
; COMPUTE_PGM_RSRC2:SCRATCH_EN: 0
; COMPUTE_PGM_RSRC2:USER_SGPR: 2
; COMPUTE_PGM_RSRC2:TRAP_HANDLER: 0
; COMPUTE_PGM_RSRC2:TGID_X_EN: 1
; COMPUTE_PGM_RSRC2:TGID_Y_EN: 0
; COMPUTE_PGM_RSRC2:TGID_Z_EN: 0
; COMPUTE_PGM_RSRC2:TIDIG_COMP_CNT: 0
; COMPUTE_PGM_RSRC3_GFX90A:ACCUM_OFFSET: 13
; COMPUTE_PGM_RSRC3_GFX90A:TG_SPLIT: 0
	.section	.text._ZN2at6native12_GLOBAL__N_143distribution_elementwise_grid_stride_kernelIfLi4EZNS0_9templates4cuda20normal_and_transformIN3c104HalfEfPNS_17CUDAGeneratorImplEZZZNS4_17log_normal_kernelIS9_EEvRNS_18TensorIteratorBaseEddT_ENKUlvE_clEvENKUlvE1_clEvEUlfE_EEvSC_T1_T2_EUlP25hiprandStatePhilox4_32_10E_ZNS1_27distribution_nullary_kernelIS7_f15HIP_vector_typeIdLj2EES9_SL_SG_EEvSC_SI_RKT3_T4_EUlifE_EEvlNS_15PhiloxCudaStateESH_SI_,"axG",@progbits,_ZN2at6native12_GLOBAL__N_143distribution_elementwise_grid_stride_kernelIfLi4EZNS0_9templates4cuda20normal_and_transformIN3c104HalfEfPNS_17CUDAGeneratorImplEZZZNS4_17log_normal_kernelIS9_EEvRNS_18TensorIteratorBaseEddT_ENKUlvE_clEvENKUlvE1_clEvEUlfE_EEvSC_T1_T2_EUlP25hiprandStatePhilox4_32_10E_ZNS1_27distribution_nullary_kernelIS7_f15HIP_vector_typeIdLj2EES9_SL_SG_EEvSC_SI_RKT3_T4_EUlifE_EEvlNS_15PhiloxCudaStateESH_SI_,comdat
	.globl	_ZN2at6native12_GLOBAL__N_143distribution_elementwise_grid_stride_kernelIfLi4EZNS0_9templates4cuda20normal_and_transformIN3c104HalfEfPNS_17CUDAGeneratorImplEZZZNS4_17log_normal_kernelIS9_EEvRNS_18TensorIteratorBaseEddT_ENKUlvE_clEvENKUlvE1_clEvEUlfE_EEvSC_T1_T2_EUlP25hiprandStatePhilox4_32_10E_ZNS1_27distribution_nullary_kernelIS7_f15HIP_vector_typeIdLj2EES9_SL_SG_EEvSC_SI_RKT3_T4_EUlifE_EEvlNS_15PhiloxCudaStateESH_SI_ ; -- Begin function _ZN2at6native12_GLOBAL__N_143distribution_elementwise_grid_stride_kernelIfLi4EZNS0_9templates4cuda20normal_and_transformIN3c104HalfEfPNS_17CUDAGeneratorImplEZZZNS4_17log_normal_kernelIS9_EEvRNS_18TensorIteratorBaseEddT_ENKUlvE_clEvENKUlvE1_clEvEUlfE_EEvSC_T1_T2_EUlP25hiprandStatePhilox4_32_10E_ZNS1_27distribution_nullary_kernelIS7_f15HIP_vector_typeIdLj2EES9_SL_SG_EEvSC_SI_RKT3_T4_EUlifE_EEvlNS_15PhiloxCudaStateESH_SI_
	.p2align	8
	.type	_ZN2at6native12_GLOBAL__N_143distribution_elementwise_grid_stride_kernelIfLi4EZNS0_9templates4cuda20normal_and_transformIN3c104HalfEfPNS_17CUDAGeneratorImplEZZZNS4_17log_normal_kernelIS9_EEvRNS_18TensorIteratorBaseEddT_ENKUlvE_clEvENKUlvE1_clEvEUlfE_EEvSC_T1_T2_EUlP25hiprandStatePhilox4_32_10E_ZNS1_27distribution_nullary_kernelIS7_f15HIP_vector_typeIdLj2EES9_SL_SG_EEvSC_SI_RKT3_T4_EUlifE_EEvlNS_15PhiloxCudaStateESH_SI_,@function
_ZN2at6native12_GLOBAL__N_143distribution_elementwise_grid_stride_kernelIfLi4EZNS0_9templates4cuda20normal_and_transformIN3c104HalfEfPNS_17CUDAGeneratorImplEZZZNS4_17log_normal_kernelIS9_EEvRNS_18TensorIteratorBaseEddT_ENKUlvE_clEvENKUlvE1_clEvEUlfE_EEvSC_T1_T2_EUlP25hiprandStatePhilox4_32_10E_ZNS1_27distribution_nullary_kernelIS7_f15HIP_vector_typeIdLj2EES9_SL_SG_EEvSC_SI_RKT3_T4_EUlifE_EEvlNS_15PhiloxCudaStateESH_SI_: ; @_ZN2at6native12_GLOBAL__N_143distribution_elementwise_grid_stride_kernelIfLi4EZNS0_9templates4cuda20normal_and_transformIN3c104HalfEfPNS_17CUDAGeneratorImplEZZZNS4_17log_normal_kernelIS9_EEvRNS_18TensorIteratorBaseEddT_ENKUlvE_clEvENKUlvE1_clEvEUlfE_EEvSC_T1_T2_EUlP25hiprandStatePhilox4_32_10E_ZNS1_27distribution_nullary_kernelIS7_f15HIP_vector_typeIdLj2EES9_SL_SG_EEvSC_SI_RKT3_T4_EUlifE_EEvlNS_15PhiloxCudaStateESH_SI_
; %bb.0:
	s_load_dword s3, s[0:1], 0x20
	s_load_dwordx2 s[8:9], s[0:1], 0x10
	s_load_dwordx4 s[4:7], s[0:1], 0x0
	s_mov_b32 s13, 0
	s_waitcnt lgkmcnt(0)
	s_bitcmp0_b32 s3, 0
	v_mov_b64_e32 v[2:3], s[8:9]
	v_mov_b64_e32 v[12:13], s[6:7]
	s_cbranch_scc1 .LBB8_2
; %bb.1:
	v_mov_b64_e32 v[4:5], s[8:9]
	v_mov_b64_e32 v[2:3], s[6:7]
	flat_load_dwordx2 v[6:7], v[4:5]
	flat_load_dwordx2 v[12:13], v[2:3]
	s_load_dwordx2 s[6:7], s[0:1], 0x18
	s_waitcnt vmcnt(0) lgkmcnt(0)
	v_lshl_add_u64 v[2:3], v[6:7], 0, s[6:7]
.LBB8_2:
	s_load_dword s3, s[0:1], 0x54
	s_load_dword s22, s[0:1], 0x48
	s_mov_b32 s10, s13
	s_mov_b64 s[8:9], -1
	s_waitcnt lgkmcnt(0)
	s_and_b32 s3, s3, 0xffff
	s_add_u32 s7, s4, -1
	s_mul_i32 s6, s22, s3
	s_addc_u32 s11, s5, -1
	s_lshl_b32 s12, s6, 2
	s_cmp_lg_u64 s[10:11], 0
	s_cbranch_scc0 .LBB8_27
; %bb.3:
	v_cvt_f32_u32_e32 v1, s12
	v_cvt_f32_ubyte0_e32 v4, 0
	s_sub_u32 s10, 0, s12
	s_subb_u32 s14, 0, 0
	v_fmamk_f32 v1, v4, 0x4f800000, v1
	v_rcp_f32_e32 v1, v1
	s_nop 0
	v_mul_f32_e32 v1, 0x5f7ffffc, v1
	v_mul_f32_e32 v4, 0x2f800000, v1
	v_trunc_f32_e32 v4, v4
	v_fmamk_f32 v1, v4, 0xcf800000, v1
	v_cvt_u32_f32_e32 v4, v4
	v_cvt_u32_f32_e32 v1, v1
	v_readfirstlane_b32 s15, v4
	v_readfirstlane_b32 s16, v1
	s_mul_i32 s17, s10, s15
	s_mul_hi_u32 s19, s10, s16
	s_mul_i32 s18, s14, s16
	s_add_i32 s17, s19, s17
	s_add_i32 s17, s17, s18
	s_mul_i32 s20, s10, s16
	s_mul_hi_u32 s18, s16, s17
	s_mul_i32 s19, s16, s17
	s_mul_hi_u32 s16, s16, s20
	s_add_u32 s16, s16, s19
	s_addc_u32 s18, 0, s18
	s_mul_hi_u32 s21, s15, s20
	s_mul_i32 s20, s15, s20
	s_add_u32 s16, s16, s20
	s_mul_hi_u32 s19, s15, s17
	s_addc_u32 s16, s18, s21
	s_addc_u32 s18, s19, 0
	s_mul_i32 s17, s15, s17
	s_add_u32 s16, s16, s17
	s_addc_u32 s17, 0, s18
	v_add_co_u32_e32 v1, vcc, s16, v1
	s_cmp_lg_u64 vcc, 0
	s_addc_u32 s15, s15, s17
	v_readfirstlane_b32 s17, v1
	s_mul_i32 s16, s10, s15
	s_mul_hi_u32 s18, s10, s17
	s_add_i32 s16, s18, s16
	s_mul_i32 s14, s14, s17
	s_add_i32 s16, s16, s14
	s_mul_i32 s10, s10, s17
	s_mul_hi_u32 s18, s15, s10
	s_mul_i32 s19, s15, s10
	s_mul_i32 s21, s17, s16
	s_mul_hi_u32 s10, s17, s10
	s_mul_hi_u32 s20, s17, s16
	s_add_u32 s10, s10, s21
	s_addc_u32 s17, 0, s20
	s_add_u32 s10, s10, s19
	s_mul_hi_u32 s14, s15, s16
	s_addc_u32 s10, s17, s18
	s_addc_u32 s14, s14, 0
	s_mul_i32 s16, s15, s16
	s_add_u32 s10, s10, s16
	s_addc_u32 s14, 0, s14
	v_add_co_u32_e32 v1, vcc, s10, v1
	s_cmp_lg_u64 vcc, 0
	s_addc_u32 s16, s15, s14
	s_ashr_i32 s14, s11, 31
	s_add_u32 s10, s7, s14
	s_mov_b32 s15, s14
	s_addc_u32 s11, s11, s14
	s_xor_b64 s[10:11], s[10:11], s[14:15]
	v_readfirstlane_b32 s19, v1
	s_mul_i32 s18, s10, s16
	s_mul_hi_u32 s20, s10, s19
	s_mul_hi_u32 s17, s10, s16
	s_add_u32 s18, s20, s18
	s_addc_u32 s17, 0, s17
	s_mul_hi_u32 s21, s11, s19
	s_mul_i32 s19, s11, s19
	s_add_u32 s18, s18, s19
	s_mul_hi_u32 s20, s11, s16
	s_addc_u32 s17, s17, s21
	s_addc_u32 s18, s20, 0
	s_mul_i32 s16, s11, s16
	s_add_u32 s16, s17, s16
	s_addc_u32 s17, 0, s18
	s_add_u32 s18, s16, 1
	s_addc_u32 s19, s17, 0
	s_add_u32 s20, s16, 2
	s_mul_i32 s23, s12, s17
	s_mul_hi_u32 s24, s12, s16
	s_addc_u32 s21, s17, 0
	s_add_i32 s24, s24, s23
	s_mul_i32 s23, s12, s16
	v_mov_b32_e32 v1, s23
	v_sub_co_u32_e32 v1, vcc, s10, v1
	s_cmp_lg_u64 vcc, 0
	s_subb_u32 s10, s11, s24
	v_subrev_co_u32_e32 v4, vcc, s12, v1
	s_cmp_lg_u64 vcc, 0
	s_subb_u32 s11, s10, 0
	v_readfirstlane_b32 s23, v4
	s_cmp_ge_u32 s23, s12
	s_cselect_b32 s23, -1, 0
	s_cmp_eq_u32 s11, 0
	s_cselect_b32 s11, s23, -1
	s_cmp_lg_u32 s11, 0
	s_cselect_b32 s11, s21, s19
	v_readfirstlane_b32 s19, v1
	s_cselect_b32 s18, s20, s18
	s_cmp_ge_u32 s19, s12
	s_cselect_b32 s19, -1, 0
	s_cmp_eq_u32 s10, 0
	s_cselect_b32 s10, s19, -1
	s_cmp_lg_u32 s10, 0
	s_cselect_b32 s11, s11, s17
	s_cselect_b32 s10, s18, s16
	s_xor_b64 s[10:11], s[10:11], s[14:15]
	s_sub_u32 s10, s10, s14
	s_subb_u32 s11, s11, s14
	s_cbranch_execnz .LBB8_5
.LBB8_4:
	v_cvt_f32_u32_e32 v1, s12
	s_sub_i32 s8, 0, s12
	s_mov_b32 s11, 0
	v_rcp_iflag_f32_e32 v1, v1
	s_nop 0
	v_mul_f32_e32 v1, 0x4f7ffffe, v1
	v_cvt_u32_f32_e32 v1, v1
	s_nop 0
	v_readfirstlane_b32 s9, v1
	s_mul_i32 s8, s8, s9
	s_mul_hi_u32 s8, s9, s8
	s_add_i32 s9, s9, s8
	s_mul_hi_u32 s8, s7, s9
	s_mul_i32 s10, s8, s12
	s_sub_i32 s7, s7, s10
	s_add_i32 s9, s8, 1
	s_sub_i32 s10, s7, s12
	s_cmp_ge_u32 s7, s12
	s_cselect_b32 s8, s9, s8
	s_cselect_b32 s7, s10, s7
	s_add_i32 s9, s8, 1
	s_cmp_ge_u32 s7, s12
	s_cselect_b32 s10, s9, s8
.LBB8_5:
	v_mov_b32_e32 v1, 0
	v_mov_b32_e32 v4, s2
	v_mad_u64_u32 v[14:15], s[8:9], s3, v4, v[0:1]
	s_add_u32 s7, s10, 1
	s_addc_u32 s8, s11, 0
	s_mul_hi_u32 s9, s22, s3
	s_mul_i32 s8, s6, s8
	s_mul_hi_u32 s10, s6, s7
	s_add_i32 s8, s10, s8
	s_mul_i32 s9, s9, s7
	s_add_i32 s9, s8, s9
	s_mul_i32 s8, s6, s7
	s_lshl_b64 s[14:15], s[8:9], 2
	v_cmp_gt_i64_e32 vcc, s[14:15], v[14:15]
	s_and_saveexec_b64 s[8:9], vcc
	s_cbranch_execz .LBB8_26
; %bb.6:
	s_load_dwordx4 s[8:11], s[0:1], 0x38
	s_load_dwordx2 s[16:17], s[0:1], 0x30
	v_mov_b32_e32 v4, v13
	v_mov_b32_e32 v5, v1
	s_mov_b64 s[0:1], 0xdb3d7428
	v_lshl_add_u64 v[16:17], v[4:5], 0, s[0:1]
	s_mov_b64 s[0:1], 0x5384540f
	v_lshl_add_u64 v[18:19], v[12:13], 0, s[0:1]
	;; [unrolled: 2-line block ×7, first 2 shown]
	s_mov_b64 s[0:1], 0x9e3779b9
	v_alignbit_b32 v17, v3, v2, 2
	s_waitcnt lgkmcnt(0)
	s_mov_b32 s11, 0xd2511f53
	v_lshl_add_u64 v[30:31], v[12:13], 0, s[0:1]
	v_mad_u64_u32 v[6:7], s[0:1], v17, s11, 0
	v_and_b32_e32 v86, 3, v2
	v_xor_b32_e32 v2, v7, v13
	v_xor_b32_e32 v2, v2, v15
	s_mov_b32 s33, 0xcd9e8d57
	v_mad_u64_u32 v[8:9], s[0:1], v2, s33, 0
	v_xor_b32_e32 v2, v30, v9
	v_mad_u64_u32 v[10:11], s[0:1], v14, s33, 0
	v_xor_b32_e32 v2, v2, v10
	;; [unrolled: 2-line block ×3, first 2 shown]
	v_lshrrev_b32_e32 v19, 2, v3
	v_xor_b32_e32 v2, v2, v19
	v_xor_b32_e32 v7, v28, v39
	v_mad_u64_u32 v[2:3], s[0:1], v2, s11, 0
	v_xor_b32_e32 v2, v7, v2
	v_mad_u64_u32 v[10:11], s[0:1], v2, s33, 0
	s_mov_b64 s[0:1], 0xbb67ae85
	s_nop 0
	v_lshl_add_u64 v[32:33], v[4:5], 0, s[0:1]
	v_xor_b32_e32 v2, v32, v3
	v_xor_b32_e32 v2, v2, v6
	v_xor_b32_e32 v7, v26, v11
	v_mad_u64_u32 v[2:3], s[0:1], v2, s33, 0
	v_xor_b32_e32 v2, v7, v2
	v_mad_u64_u32 v[6:7], s[0:1], v2, s11, 0
	s_mov_b64 s[0:1], 0x3c6ef372
	s_nop 0
	v_lshl_add_u64 v[34:35], v[12:13], 0, s[0:1]
	v_xor_b32_e32 v2, v34, v3
	;; [unrolled: 9-line block ×7, first 2 shown]
	v_xor_b32_e32 v2, v2, v46
	v_mad_u64_u32 v[2:3], s[0:1], v2, s33, 0
	s_mov_b64 s[0:1], 0xf1bbcdc8
	v_add_u32_e32 v87, 0x8ff34781, v12
	v_xor_b32_e32 v2, v51, v2
	v_lshl_add_u64 v[46:47], v[12:13], 0, s[0:1]
	v_xor_b32_e32 v6, v87, v2
	v_xor_b32_e32 v2, v46, v3
	;; [unrolled: 1-line block ×3, first 2 shown]
	v_mad_u64_u32 v[2:3], s[0:1], v2, s11, 0
	v_add_u32_e32 v88, 0x96a522ad, v13
	v_xor_b32_e32 v3, v3, v48
	v_xor_b32_e32 v8, v88, v3
	v_mov_b32_e32 v9, v2
	v_mov_b32_e32 v2, 0xffc00000
	;; [unrolled: 1-line block ×3, first 2 shown]
	v_fmac_f32_e32 v2, s0, v3
	v_mov_b32_e32 v3, 0x32a5705f
	v_fmac_f32_e32 v2, s0, v3
	v_rndne_f32_e32 v3, 0x7fc00000
	v_sub_f32_e32 v4, 0x7fc00000, v3
	v_add_f32_e32 v2, v4, v2
	v_exp_f32_e32 v2, v2
	v_cvt_i32_f32_e32 v3, v3
	s_mul_i32 s0, s2, s3
	s_mov_b32 s7, 0
	s_mov_b32 s24, 0x55555555
	v_ldexp_f32 v2, v2, v3
	v_cvt_f16_f32_e32 v21, v2
	v_add_u32_e32 v2, s0, v0
	s_mul_i32 s0, s22, s8
	s_mul_i32 s0, s0, s3
	s_lshl_b32 s47, s0, 2
	s_mul_i32 s0, s22, 3
	s_add_i32 s0, s2, s0
	s_mul_i32 s0, s0, s3
	v_mul_lo_u32 v23, s8, v2
	v_add_u32_e32 v2, s0, v0
	s_lshl_b32 s0, s22, 1
	s_add_i32 s0, s2, s0
	s_mul_i32 s0, s0, s3
	v_mul_lo_u32 v25, s8, v2
	v_add_u32_e32 v2, s0, v0
	s_add_i32 s0, s2, s22
	s_mul_i32 s0, s0, s3
	v_add_u32_e32 v0, s0, v0
	s_mov_b32 s26, 0xbf559e2b
	s_mov_b32 s28, 0xfefa39ef
	;; [unrolled: 1-line block ×8, first 2 shown]
	v_mov_b32_e32 v7, v50
	s_lshl_b32 s18, s6, 1
	s_mov_b32 s19, s7
	s_mov_b32 s46, 0x3fb8aa3b
	s_mul_i32 s20, s6, 3
	s_mov_b32 s21, s7
	v_mul_lo_u32 v27, s8, v2
	v_mul_lo_u32 v29, s8, v0
	s_mov_b64 s[22:23], 0
	s_mov_b32 s25, 0x3fe55555
	s_mov_b32 s27, 0x3fc3ab76
	;; [unrolled: 1-line block ×5, first 2 shown]
	s_brev_b32 s37, 8
	s_mov_b32 s39, 0x3f3e357e
	s_mov_b32 s41, 0x400921fb
	;; [unrolled: 1-line block ×5, first 2 shown]
	v_mov_b32_e32 v48, 0x6b47b09a
	v_mov_b32_e32 v49, 0x3fc38538
	v_mov_b32_e32 v50, 0xd7f4df2e
	v_mov_b32_e32 v51, 0x3fc7474d
	v_mov_b32_e32 v52, 0x16291751
	v_mov_b32_e32 v53, 0x3fcc71c0
	v_mov_b32_e32 v54, 0x9b27acf1
	v_mov_b32_e32 v55, 0x3fd24924
	v_mov_b32_e32 v56, 0x998ef7b6
	v_mov_b32_e32 v57, 0x3fd99999
	v_mov_b32_e32 v58, 0x55555780
	v_mov_b32_e32 v59, 0x3fe55555
	v_mov_b32_e32 v60, 0x6fdffd2b
	v_mov_b32_e32 v61, 0xbf7e2fe7
	v_mov_b32_e32 v62, 0xd5f14825
	v_mov_b32_e32 v63, 0x3fb50782
	v_mov_b32_e32 v64, 0xcdfe9424
	v_mov_b32_e32 v65, 0xbfe32d2c
	v_mov_b32_e32 v66, 0x67754fff
	v_mov_b32_e32 v67, 0x400466bc
	v_mov_b32_e32 v68, 0xe625be09
	v_mov_b32_e32 v69, 0xc014abbc
	v_mov_b32_e32 v70, 0xca1d4f33
	v_mov_b32_e32 v71, 0x3f5f9c89
	v_mov_b32_e32 v72, 0x7294bff9
	v_mov_b32_e32 v73, 0xbf9a6d1e
	v_mov_b32_e32 v74, 0x67b90b37
	v_mov_b32_e32 v75, 0x3fce1f50
	v_mov_b32_e32 v76, 0x7e3c325b
	v_mov_b32_e32 v77, 0xbff55d3c
	v_mov_b32_e32 v78, 0x81b5a67
	v_mov_b32_e32 v79, 0x40103c1f
	v_mov_b32_e32 v80, 0xc9be45de
	v_mov_b32_e32 v81, 0xc013bd3c
	s_mov_b32 s49, s7
	v_mov_b32_e32 v31, 0x7ff80000
	v_mov_b32_e32 v33, 0x7f800000
	v_mov_b32_e32 v35, v14
	v_mov_b32_e32 v37, v15
	s_branch .LBB8_8
.LBB8_7:                                ;   in Loop: Header=BB8_8 Depth=1
	s_or_b64 exec, exec, s[0:1]
	v_mov_b32_e32 v5, v82
	v_lshl_add_u64 v[14:15], v[14:15], 0, s[12:13]
	s_add_i32 s49, s49, s47
	v_cmp_le_i64_e32 vcc, s[14:15], v[14:15]
	v_mov_b64_e32 v[8:9], v[4:5]
	s_or_b64 s[22:23], vcc, s[22:23]
	v_mov_b64_e32 v[6:7], v[2:3]
	s_barrier
	s_andn2_b64 exec, exec, s[22:23]
	s_cbranch_execz .LBB8_26
.LBB8_8:                                ; =>This Inner Loop Header: Depth=1
	v_add_co_u32_e32 v17, vcc, 1, v17
	v_mad_u64_u32 v[2:3], s[0:1], v17, s11, 0
	s_nop 0
	v_cndmask_b32_e64 v0, 0, 1, vcc
	v_addc_co_u32_e32 v19, vcc, 0, v19, vcc
	v_cmp_eq_u32_e32 vcc, 0, v19
	v_xor_b32_e32 v3, v3, v13
	s_nop 0
	v_cndmask_b32_e32 v0, 0, v0, vcc
	v_add_u32_e32 v35, v0, v35
	v_cmp_eq_u32_e32 vcc, 0, v35
	v_mad_u64_u32 v[4:5], s[0:1], v35, s33, 0
	s_nop 0
	v_cndmask_b32_e32 v0, 0, v0, vcc
	v_add_u32_e32 v37, v0, v37
	v_xor_b32_e32 v0, v5, v12
	v_xor_b32_e32 v0, v19, v0
	v_xor_b32_e32 v3, v37, v3
	v_mad_u64_u32 v[10:11], s[0:1], v0, s11, 0
	v_mad_u64_u32 v[82:83], s[0:1], v3, s33, 0
	v_xor_b32_e32 v0, v30, v83
	v_xor_b32_e32 v3, v32, v11
	v_xor_b32_e32 v0, v0, v4
	v_xor_b32_e32 v4, v3, v2
	v_mad_u64_u32 v[2:3], s[0:1], v0, s11, 0
	v_mad_u64_u32 v[4:5], s[0:1], v4, s33, 0
	v_xor_b32_e32 v0, v34, v5
	;; [unrolled: 6-line block ×9, first 2 shown]
	v_xor_b32_e32 v2, v87, v0
	v_xor_b32_e32 v0, v83, v4
	;; [unrolled: 1-line block ×3, first 2 shown]
	v_mov_b32_e32 v3, v10
	v_mov_b32_e32 v4, v11
	v_cmp_lt_i32_e32 vcc, 1, v86
	s_and_saveexec_b64 s[0:1], vcc
	s_xor_b64 s[0:1], exec, s[0:1]
	s_cbranch_execz .LBB8_14
; %bb.9:                                ;   in Loop: Header=BB8_8 Depth=1
	v_cmp_lt_i32_e32 vcc, 2, v86
	s_and_saveexec_b64 s[2:3], vcc
	s_xor_b64 s[2:3], exec, s[2:3]
; %bb.10:                               ;   in Loop: Header=BB8_8 Depth=1
	v_mov_b32_e32 v8, v9
	v_mov_b32_e32 v9, v2
	v_mov_b64_e32 v[6:7], v[8:9]
	v_mov_b64_e32 v[8:9], v[10:11]
                                        ; implicit-def: $vgpr10_vgpr11
; %bb.11:                               ;   in Loop: Header=BB8_8 Depth=1
	s_andn2_saveexec_b64 s[2:3], s[2:3]
; %bb.12:                               ;   in Loop: Header=BB8_8 Depth=1
	v_mov_b32_e32 v6, v8
	v_mov_b32_e32 v7, v9
	;; [unrolled: 1-line block ×4, first 2 shown]
; %bb.13:                               ;   in Loop: Header=BB8_8 Depth=1
	s_or_b64 exec, exec, s[2:3]
.LBB8_14:                               ;   in Loop: Header=BB8_8 Depth=1
	s_andn2_saveexec_b64 s[0:1], s[0:1]
	s_cbranch_execz .LBB8_18
; %bb.15:                               ;   in Loop: Header=BB8_8 Depth=1
	v_cmp_eq_u32_e32 vcc, 1, v86
	s_and_saveexec_b64 s[2:3], vcc
; %bb.16:                               ;   in Loop: Header=BB8_8 Depth=1
	v_mov_b32_e32 v6, v7
	v_mov_b32_e32 v7, v8
	;; [unrolled: 1-line block ×4, first 2 shown]
; %bb.17:                               ;   in Loop: Header=BB8_8 Depth=1
	s_or_b64 exec, exec, s[2:3]
.LBB8_18:                               ;   in Loop: Header=BB8_8 Depth=1
	s_or_b64 exec, exec, s[0:1]
	v_mov_b32_e32 v0, v7
	v_lshlrev_b64 v[10:11], 21, v[0:1]
	v_xor_b32_e32 v0, v10, v6
	v_cvt_f64_u32_e32 v[6:7], v11
	v_ldexp_f64 v[6:7], v[6:7], 32
	v_cvt_f64_u32_e32 v[10:11], v0
	v_add_f64 v[6:7], v[6:7], v[10:11]
	v_mov_b32_e32 v10, 0
	v_mov_b32_e32 v11, 0x3ca00000
	v_fmac_f64_e32 v[10:11], 0x3ca00000, v[6:7]
	v_frexp_mant_f64_e32 v[84:85], v[10:11]
	v_mov_b32_e32 v5, 0x3ff00000
	v_cmp_gt_f64_e32 vcc, s[24:25], v[84:85]
	v_mov_b32_e32 v90, v1
	v_mov_b32_e32 v0, v9
	v_cndmask_b32_e64 v91, v5, 2.0, vcc
	v_mul_f64 v[84:85], v[84:85], v[90:91]
	v_add_f64 v[90:91], v[84:85], 1.0
	v_rcp_f64_e32 v[92:93], v[90:91]
	v_add_f64 v[96:97], v[90:91], -1.0
	v_add_f64 v[94:95], v[84:85], -1.0
	v_add_f64 v[84:85], v[84:85], -v[96:97]
	v_fma_f64 v[96:97], -v[90:91], v[92:93], 1.0
	v_fmac_f64_e32 v[92:93], v[96:97], v[92:93]
	v_fma_f64 v[96:97], -v[90:91], v[92:93], 1.0
	v_fmac_f64_e32 v[92:93], v[96:97], v[92:93]
	v_mul_f64 v[96:97], v[94:95], v[92:93]
	v_mul_f64 v[98:99], v[90:91], v[96:97]
	v_fma_f64 v[90:91], v[96:97], v[90:91], -v[98:99]
	v_fmac_f64_e32 v[90:91], v[96:97], v[84:85]
	v_add_f64 v[84:85], v[98:99], v[90:91]
	v_add_f64 v[100:101], v[94:95], -v[84:85]
	v_add_f64 v[98:99], v[84:85], -v[98:99]
	v_add_f64 v[94:95], v[94:95], -v[100:101]
	v_add_f64 v[84:85], v[94:95], -v[84:85]
	v_add_f64 v[90:91], v[98:99], -v[90:91]
	v_add_f64 v[84:85], v[90:91], v[84:85]
	v_add_f64 v[84:85], v[100:101], v[84:85]
	v_mul_f64 v[84:85], v[92:93], v[84:85]
	v_add_f64 v[90:91], v[96:97], v[84:85]
	v_add_f64 v[92:93], v[90:91], -v[96:97]
	v_add_f64 v[84:85], v[84:85], -v[92:93]
	v_mul_f64 v[92:93], v[90:91], v[90:91]
	v_mov_b64_e32 v[94:95], v[48:49]
	v_fmac_f64_e32 v[94:95], s[26:27], v[92:93]
	v_mov_b64_e32 v[96:97], v[50:51]
	v_fmac_f64_e32 v[96:97], v[92:93], v[94:95]
	;; [unrolled: 2-line block ×6, first 2 shown]
	v_ldexp_f64 v[94:95], v[90:91], 1
	v_mul_f64 v[90:91], v[90:91], v[92:93]
	v_mul_f64 v[90:91], v[90:91], v[96:97]
	v_add_f64 v[92:93], v[94:95], v[90:91]
	v_add_f64 v[94:95], v[92:93], -v[94:95]
	v_lshlrev_b64 v[6:7], 21, v[0:1]
	v_ldexp_f64 v[84:85], v[84:85], 1
	v_add_f64 v[90:91], v[90:91], -v[94:95]
	v_xor_b32_e32 v0, v6, v8
	v_add_f64 v[84:85], v[84:85], v[90:91]
	v_cvt_f64_u32_e32 v[8:9], v0
	v_frexp_exp_i32_f64_e32 v0, v[10:11]
	v_add_f64 v[90:91], v[92:93], v[84:85]
	v_subbrev_co_u32_e32 v0, vcc, 0, v0, vcc
	v_add_f64 v[92:93], v[90:91], -v[92:93]
	v_add_f64 v[84:85], v[84:85], -v[92:93]
	v_cvt_f64_i32_e32 v[92:93], v0
	v_mul_f64 v[94:95], v[92:93], s[28:29]
	v_fma_f64 v[96:97], v[92:93], s[28:29], -v[94:95]
	v_fmac_f64_e32 v[96:97], s[30:31], v[92:93]
	v_add_f64 v[92:93], v[94:95], v[96:97]
	v_add_f64 v[94:95], v[92:93], -v[94:95]
	v_add_f64 v[94:95], v[96:97], -v[94:95]
	v_add_f64 v[96:97], v[92:93], v[90:91]
	v_add_f64 v[98:99], v[96:97], -v[92:93]
	v_add_f64 v[100:101], v[96:97], -v[98:99]
	;; [unrolled: 1-line block ×4, first 2 shown]
	v_add_f64 v[90:91], v[90:91], v[92:93]
	v_add_f64 v[92:93], v[94:95], v[84:85]
	v_add_f64 v[98:99], v[92:93], -v[94:95]
	v_add_f64 v[100:101], v[92:93], -v[98:99]
	v_add_f64 v[90:91], v[92:93], v[90:91]
	v_add_f64 v[94:95], v[94:95], -v[100:101]
	v_add_f64 v[84:85], v[84:85], -v[98:99]
	v_add_f64 v[92:93], v[96:97], v[90:91]
	v_add_f64 v[84:85], v[84:85], v[94:95]
	v_add_f64 v[94:95], v[92:93], -v[96:97]
	v_add_f64 v[90:91], v[90:91], -v[94:95]
	v_add_f64 v[84:85], v[84:85], v[90:91]
	v_add_f64 v[84:85], v[92:93], v[84:85]
	v_cmp_eq_f64_e32 vcc, s[34:35], v[10:11]
	v_mov_b32_e32 v0, 0x7ff00000
	v_cvt_f64_u32_e32 v[6:7], v7
	v_cndmask_b32_e32 v85, v85, v11, vcc
	v_cndmask_b32_e32 v84, v84, v10, vcc
	v_mul_f64 v[84:85], v[84:85], -2.0
	v_cmp_neq_f64_e32 vcc, 0, v[10:11]
	v_ldexp_f64 v[6:7], v[6:7], 32
	v_add_f64 v[6:7], v[6:7], v[8:9]
	v_cndmask_b32_e32 v11, v0, v85, vcc
	v_cndmask_b32_e32 v10, 0, v84, vcc
	v_cmp_gt_f64_e32 vcc, s[36:37], v[10:11]
	v_mov_b32_e32 v8, 0
	v_mov_b32_e32 v9, 0x3cb00000
	v_cndmask_b32_e64 v0, 0, 1, vcc
	v_lshlrev_b32_e32 v0, 8, v0
	v_ldexp_f64 v[10:11], v[10:11], v0
	v_rsq_f64_e32 v[84:85], v[10:11]
	v_fmac_f64_e32 v[8:9], 0x3cb00000, v[6:7]
	v_mov_b32_e32 v0, 0xffffff80
	v_cndmask_b32_e32 v0, 0, v0, vcc
	v_mul_f64 v[6:7], v[10:11], v[84:85]
	v_mul_f64 v[84:85], v[84:85], 0.5
	v_fma_f64 v[90:91], -v[84:85], v[6:7], 0.5
	v_fmac_f64_e32 v[6:7], v[6:7], v[90:91]
	v_fma_f64 v[92:93], -v[6:7], v[6:7], v[10:11]
	v_fmac_f64_e32 v[84:85], v[84:85], v[90:91]
	v_fmac_f64_e32 v[6:7], v[92:93], v[84:85]
	v_fma_f64 v[90:91], -v[6:7], v[6:7], v[10:11]
	v_fmac_f64_e32 v[6:7], v[90:91], v[84:85]
	v_ldexp_f64 v[6:7], v[6:7], v0
	v_mov_b32_e32 v0, 0x260
	v_cmp_class_f64_e32 vcc, v[10:11], v0
	v_mov_b64_e32 v[92:93], v[62:63]
	v_cmp_gt_i64_e64 s[2:3], s[4:5], v[14:15]
	v_cndmask_b32_e32 v7, v7, v11, vcc
	v_cndmask_b32_e32 v6, v6, v10, vcc
	v_mul_f64 v[10:11], v[8:9], 0.5
	v_fract_f64_e32 v[84:85], v[10:11]
	v_add_f64 v[84:85], v[84:85], v[84:85]
	v_cmp_neq_f64_e32 vcc, s[34:35], v[10:11]
	s_nop 1
	v_cndmask_b32_e32 v0, 0, v84, vcc
	v_cndmask_b32_e32 v5, 0, v85, vcc
	v_cmp_lt_f64_e32 vcc, 1.0, v[8:9]
	s_nop 1
	v_cndmask_b32_e32 v85, v9, v5, vcc
	v_cndmask_b32_e32 v84, v8, v0, vcc
	v_add_f64 v[10:11], v[84:85], v[84:85]
	v_rndne_f64_e32 v[10:11], v[10:11]
	v_fmac_f64_e32 v[84:85], -0.5, v[10:11]
	v_cvt_i32_f64_e32 v5, v[10:11]
	v_mul_f64 v[90:91], v[84:85], v[84:85]
	v_mov_b64_e32 v[10:11], v[60:61]
	v_fmac_f64_e32 v[10:11], s[38:39], v[90:91]
	v_fmac_f64_e32 v[92:93], v[90:91], v[10:11]
	v_mov_b64_e32 v[10:11], v[64:65]
	v_fmac_f64_e32 v[10:11], v[90:91], v[92:93]
	v_mov_b64_e32 v[92:93], v[66:67]
	;; [unrolled: 2-line block ×3, first 2 shown]
	v_fmac_f64_e32 v[10:11], v[90:91], v[92:93]
	v_mul_f64 v[92:93], v[84:85], v[90:91]
	v_mul_f64 v[10:11], v[92:93], v[10:11]
	v_fmac_f64_e32 v[10:11], s[40:41], v[84:85]
	v_mov_b64_e32 v[84:85], v[70:71]
	v_fmac_f64_e32 v[84:85], s[42:43], v[90:91]
	v_mov_b64_e32 v[92:93], v[72:73]
	;; [unrolled: 2-line block ×6, first 2 shown]
	v_fmac_f64_e32 v[92:93], v[90:91], v[84:85]
	v_lshlrev_b32_e32 v0, 30, v5
	v_and_b32_e32 v5, 1, v5
	v_fma_f64 v[84:85], v[90:91], v[92:93], 1.0
	v_cmp_eq_u32_e64 s[0:1], 0, v5
	v_cmp_lg_f64_e32 vcc, s[34:35], v[8:9]
	s_and_saveexec_b64 s[44:45], s[2:3]
	s_cbranch_execz .LBB8_20
; %bb.19:                               ;   in Loop: Header=BB8_8 Depth=1
	v_xor_b32_e32 v9, v0, v9
	v_cndmask_b32_e64 v8, v85, v11, s[0:1]
	v_and_b32_e32 v9, 0x80000000, v9
	v_cndmask_b32_e64 v5, v84, v10, s[0:1]
	v_xor_b32_e32 v9, v8, v9
	v_cndmask_b32_e32 v8, 0, v5, vcc
	v_cndmask_b32_e32 v9, v31, v9, vcc
	v_mul_f64 v[8:9], v[6:7], v[8:9]
	v_cvt_f32_f64_e32 v5, v[8:9]
	v_mov_b32_e32 v8, s9
	v_fma_f32 v5, s10, v5, v8
	v_mul_f32_e32 v8, 0x3fb8aa3b, v5
	v_fma_f32 v9, v5, s46, -v8
	v_rndne_f32_e32 v39, v8
	v_fmac_f32_e32 v9, 0x32a5705f, v5
	v_sub_f32_e32 v8, v8, v39
	v_add_f32_e32 v8, v8, v9
	v_exp_f32_e32 v8, v8
	v_cvt_i32_f32_e32 v9, v39
	v_cmp_ngt_f32_e64 s[2:3], s8, v5
	v_ldexp_f32 v8, v8, v9
	s_nop 0
	v_cndmask_b32_e64 v8, 0, v8, s[2:3]
	v_cmp_nlt_f32_e64 s[2:3], s48, v5
	s_nop 1
	v_cndmask_b32_e64 v5, v33, v8, s[2:3]
	v_cvt_f16_f32_e32 v5, v5
	v_add_u32_e32 v8, s49, v23
	v_ashrrev_i32_e32 v9, 31, v8
	v_lshl_add_u64 v[8:9], s[16:17], 0, v[8:9]
	global_store_short v[8:9], v5, off
.LBB8_20:                               ;   in Loop: Header=BB8_8 Depth=1
	s_or_b64 exec, exec, s[44:45]
	v_lshl_add_u64 v[8:9], s[6:7], 0, v[14:15]
	v_cmp_gt_i64_e64 s[2:3], s[4:5], v[8:9]
	s_and_saveexec_b64 s[44:45], s[2:3]
	s_cbranch_execz .LBB8_22
; %bb.21:                               ;   in Loop: Header=BB8_8 Depth=1
	v_xor_b32_e32 v5, 0x80000000, v11
	v_and_b32_e32 v0, 0x80000000, v0
	v_cndmask_b32_e64 v5, v5, v85, s[0:1]
	v_cndmask_b32_e64 v8, v10, v84, s[0:1]
	v_xor_b32_e32 v0, v5, v0
	v_cndmask_b32_e32 v9, v31, v0, vcc
	v_cndmask_b32_e32 v8, 0, v8, vcc
	v_mul_f64 v[6:7], v[6:7], v[8:9]
	v_cvt_f32_f64_e32 v0, v[6:7]
	v_mov_b32_e32 v5, s9
	v_fma_f32 v0, s10, v0, v5
	v_mul_f32_e32 v5, 0x3fb8aa3b, v0
	v_fma_f32 v6, v0, s46, -v5
	v_rndne_f32_e32 v7, v5
	v_fmac_f32_e32 v6, 0x32a5705f, v0
	v_sub_f32_e32 v5, v5, v7
	v_add_f32_e32 v5, v5, v6
	v_exp_f32_e32 v5, v5
	v_cvt_i32_f32_e32 v6, v7
	v_cmp_ngt_f32_e32 vcc, s8, v0
	v_ldexp_f32 v5, v5, v6
	s_nop 0
	v_cndmask_b32_e32 v5, 0, v5, vcc
	v_cmp_nlt_f32_e32 vcc, s48, v0
	v_add_u32_e32 v6, s49, v29
	v_ashrrev_i32_e32 v7, 31, v6
	v_cndmask_b32_e32 v0, v33, v5, vcc
	v_cvt_f16_f32_e32 v0, v0
	v_lshl_add_u64 v[6:7], s[16:17], 0, v[6:7]
	global_store_short v[6:7], v0, off
.LBB8_22:                               ;   in Loop: Header=BB8_8 Depth=1
	s_or_b64 exec, exec, s[44:45]
	v_lshl_add_u64 v[6:7], s[18:19], 0, v[14:15]
	v_cmp_gt_i64_e32 vcc, s[4:5], v[6:7]
	s_and_saveexec_b64 s[0:1], vcc
	s_cbranch_execz .LBB8_24
; %bb.23:                               ;   in Loop: Header=BB8_8 Depth=1
	v_add_u32_e32 v6, s49, v27
	v_ashrrev_i32_e32 v7, 31, v6
	v_lshl_add_u64 v[6:7], s[16:17], 0, v[6:7]
	global_store_short v[6:7], v21, off
.LBB8_24:                               ;   in Loop: Header=BB8_8 Depth=1
	s_or_b64 exec, exec, s[0:1]
	v_lshl_add_u64 v[6:7], s[20:21], 0, v[14:15]
	v_cmp_gt_i64_e32 vcc, s[4:5], v[6:7]
	s_and_saveexec_b64 s[0:1], vcc
	s_cbranch_execz .LBB8_7
; %bb.25:                               ;   in Loop: Header=BB8_8 Depth=1
	v_add_u32_e32 v6, s49, v25
	v_ashrrev_i32_e32 v7, 31, v6
	v_lshl_add_u64 v[6:7], s[16:17], 0, v[6:7]
	global_store_short v[6:7], v21, off
	s_branch .LBB8_7
.LBB8_26:
	s_endpgm
.LBB8_27:
                                        ; implicit-def: $sgpr10_sgpr11
	s_andn2_b64 vcc, exec, s[8:9]
	s_cbranch_vccz .LBB8_4
	s_branch .LBB8_5
	.section	.rodata,"a",@progbits
	.p2align	6, 0x0
	.amdhsa_kernel _ZN2at6native12_GLOBAL__N_143distribution_elementwise_grid_stride_kernelIfLi4EZNS0_9templates4cuda20normal_and_transformIN3c104HalfEfPNS_17CUDAGeneratorImplEZZZNS4_17log_normal_kernelIS9_EEvRNS_18TensorIteratorBaseEddT_ENKUlvE_clEvENKUlvE1_clEvEUlfE_EEvSC_T1_T2_EUlP25hiprandStatePhilox4_32_10E_ZNS1_27distribution_nullary_kernelIS7_f15HIP_vector_typeIdLj2EES9_SL_SG_EEvSC_SI_RKT3_T4_EUlifE_EEvlNS_15PhiloxCudaStateESH_SI_
		.amdhsa_group_segment_fixed_size 0
		.amdhsa_private_segment_fixed_size 0
		.amdhsa_kernarg_size 328
		.amdhsa_user_sgpr_count 2
		.amdhsa_user_sgpr_dispatch_ptr 0
		.amdhsa_user_sgpr_queue_ptr 0
		.amdhsa_user_sgpr_kernarg_segment_ptr 1
		.amdhsa_user_sgpr_dispatch_id 0
		.amdhsa_user_sgpr_kernarg_preload_length 0
		.amdhsa_user_sgpr_kernarg_preload_offset 0
		.amdhsa_user_sgpr_private_segment_size 0
		.amdhsa_uses_dynamic_stack 0
		.amdhsa_enable_private_segment 0
		.amdhsa_system_sgpr_workgroup_id_x 1
		.amdhsa_system_sgpr_workgroup_id_y 0
		.amdhsa_system_sgpr_workgroup_id_z 0
		.amdhsa_system_sgpr_workgroup_info 0
		.amdhsa_system_vgpr_workitem_id 0
		.amdhsa_next_free_vgpr 102
		.amdhsa_next_free_sgpr 50
		.amdhsa_accum_offset 104
		.amdhsa_reserve_vcc 1
		.amdhsa_float_round_mode_32 0
		.amdhsa_float_round_mode_16_64 0
		.amdhsa_float_denorm_mode_32 3
		.amdhsa_float_denorm_mode_16_64 3
		.amdhsa_dx10_clamp 1
		.amdhsa_ieee_mode 1
		.amdhsa_fp16_overflow 0
		.amdhsa_tg_split 0
		.amdhsa_exception_fp_ieee_invalid_op 0
		.amdhsa_exception_fp_denorm_src 0
		.amdhsa_exception_fp_ieee_div_zero 0
		.amdhsa_exception_fp_ieee_overflow 0
		.amdhsa_exception_fp_ieee_underflow 0
		.amdhsa_exception_fp_ieee_inexact 0
		.amdhsa_exception_int_div_zero 0
	.end_amdhsa_kernel
	.section	.text._ZN2at6native12_GLOBAL__N_143distribution_elementwise_grid_stride_kernelIfLi4EZNS0_9templates4cuda20normal_and_transformIN3c104HalfEfPNS_17CUDAGeneratorImplEZZZNS4_17log_normal_kernelIS9_EEvRNS_18TensorIteratorBaseEddT_ENKUlvE_clEvENKUlvE1_clEvEUlfE_EEvSC_T1_T2_EUlP25hiprandStatePhilox4_32_10E_ZNS1_27distribution_nullary_kernelIS7_f15HIP_vector_typeIdLj2EES9_SL_SG_EEvSC_SI_RKT3_T4_EUlifE_EEvlNS_15PhiloxCudaStateESH_SI_,"axG",@progbits,_ZN2at6native12_GLOBAL__N_143distribution_elementwise_grid_stride_kernelIfLi4EZNS0_9templates4cuda20normal_and_transformIN3c104HalfEfPNS_17CUDAGeneratorImplEZZZNS4_17log_normal_kernelIS9_EEvRNS_18TensorIteratorBaseEddT_ENKUlvE_clEvENKUlvE1_clEvEUlfE_EEvSC_T1_T2_EUlP25hiprandStatePhilox4_32_10E_ZNS1_27distribution_nullary_kernelIS7_f15HIP_vector_typeIdLj2EES9_SL_SG_EEvSC_SI_RKT3_T4_EUlifE_EEvlNS_15PhiloxCudaStateESH_SI_,comdat
.Lfunc_end8:
	.size	_ZN2at6native12_GLOBAL__N_143distribution_elementwise_grid_stride_kernelIfLi4EZNS0_9templates4cuda20normal_and_transformIN3c104HalfEfPNS_17CUDAGeneratorImplEZZZNS4_17log_normal_kernelIS9_EEvRNS_18TensorIteratorBaseEddT_ENKUlvE_clEvENKUlvE1_clEvEUlfE_EEvSC_T1_T2_EUlP25hiprandStatePhilox4_32_10E_ZNS1_27distribution_nullary_kernelIS7_f15HIP_vector_typeIdLj2EES9_SL_SG_EEvSC_SI_RKT3_T4_EUlifE_EEvlNS_15PhiloxCudaStateESH_SI_, .Lfunc_end8-_ZN2at6native12_GLOBAL__N_143distribution_elementwise_grid_stride_kernelIfLi4EZNS0_9templates4cuda20normal_and_transformIN3c104HalfEfPNS_17CUDAGeneratorImplEZZZNS4_17log_normal_kernelIS9_EEvRNS_18TensorIteratorBaseEddT_ENKUlvE_clEvENKUlvE1_clEvEUlfE_EEvSC_T1_T2_EUlP25hiprandStatePhilox4_32_10E_ZNS1_27distribution_nullary_kernelIS7_f15HIP_vector_typeIdLj2EES9_SL_SG_EEvSC_SI_RKT3_T4_EUlifE_EEvlNS_15PhiloxCudaStateESH_SI_
                                        ; -- End function
	.section	.AMDGPU.csdata,"",@progbits
; Kernel info:
; codeLenInByte = 4252
; NumSgprs: 56
; NumVgprs: 102
; NumAgprs: 0
; TotalNumVgprs: 102
; ScratchSize: 0
; MemoryBound: 0
; FloatMode: 240
; IeeeMode: 1
; LDSByteSize: 0 bytes/workgroup (compile time only)
; SGPRBlocks: 6
; VGPRBlocks: 12
; NumSGPRsForWavesPerEU: 56
; NumVGPRsForWavesPerEU: 102
; AccumOffset: 104
; Occupancy: 4
; WaveLimiterHint : 0
; COMPUTE_PGM_RSRC2:SCRATCH_EN: 0
; COMPUTE_PGM_RSRC2:USER_SGPR: 2
; COMPUTE_PGM_RSRC2:TRAP_HANDLER: 0
; COMPUTE_PGM_RSRC2:TGID_X_EN: 1
; COMPUTE_PGM_RSRC2:TGID_Y_EN: 0
; COMPUTE_PGM_RSRC2:TGID_Z_EN: 0
; COMPUTE_PGM_RSRC2:TIDIG_COMP_CNT: 0
; COMPUTE_PGM_RSRC3_GFX90A:ACCUM_OFFSET: 25
; COMPUTE_PGM_RSRC3_GFX90A:TG_SPLIT: 0
	.section	.text._ZN2at6native12_GLOBAL__N_143distribution_elementwise_grid_stride_kernelIfLi4EZNS0_9templates4cuda20normal_and_transformIN3c104HalfEfPNS_17CUDAGeneratorImplEZZZNS4_17log_normal_kernelIS9_EEvRNS_18TensorIteratorBaseEddT_ENKUlvE_clEvENKUlvE1_clEvEUlfE_EEvSC_T1_T2_EUlP25hiprandStatePhilox4_32_10E_ZNS1_27distribution_nullary_kernelIS7_f15HIP_vector_typeIdLj2EES9_SL_SG_EEvSC_SI_RKT3_T4_EUlifE0_EEvlNS_15PhiloxCudaStateESH_SI_,"axG",@progbits,_ZN2at6native12_GLOBAL__N_143distribution_elementwise_grid_stride_kernelIfLi4EZNS0_9templates4cuda20normal_and_transformIN3c104HalfEfPNS_17CUDAGeneratorImplEZZZNS4_17log_normal_kernelIS9_EEvRNS_18TensorIteratorBaseEddT_ENKUlvE_clEvENKUlvE1_clEvEUlfE_EEvSC_T1_T2_EUlP25hiprandStatePhilox4_32_10E_ZNS1_27distribution_nullary_kernelIS7_f15HIP_vector_typeIdLj2EES9_SL_SG_EEvSC_SI_RKT3_T4_EUlifE0_EEvlNS_15PhiloxCudaStateESH_SI_,comdat
	.globl	_ZN2at6native12_GLOBAL__N_143distribution_elementwise_grid_stride_kernelIfLi4EZNS0_9templates4cuda20normal_and_transformIN3c104HalfEfPNS_17CUDAGeneratorImplEZZZNS4_17log_normal_kernelIS9_EEvRNS_18TensorIteratorBaseEddT_ENKUlvE_clEvENKUlvE1_clEvEUlfE_EEvSC_T1_T2_EUlP25hiprandStatePhilox4_32_10E_ZNS1_27distribution_nullary_kernelIS7_f15HIP_vector_typeIdLj2EES9_SL_SG_EEvSC_SI_RKT3_T4_EUlifE0_EEvlNS_15PhiloxCudaStateESH_SI_ ; -- Begin function _ZN2at6native12_GLOBAL__N_143distribution_elementwise_grid_stride_kernelIfLi4EZNS0_9templates4cuda20normal_and_transformIN3c104HalfEfPNS_17CUDAGeneratorImplEZZZNS4_17log_normal_kernelIS9_EEvRNS_18TensorIteratorBaseEddT_ENKUlvE_clEvENKUlvE1_clEvEUlfE_EEvSC_T1_T2_EUlP25hiprandStatePhilox4_32_10E_ZNS1_27distribution_nullary_kernelIS7_f15HIP_vector_typeIdLj2EES9_SL_SG_EEvSC_SI_RKT3_T4_EUlifE0_EEvlNS_15PhiloxCudaStateESH_SI_
	.p2align	8
	.type	_ZN2at6native12_GLOBAL__N_143distribution_elementwise_grid_stride_kernelIfLi4EZNS0_9templates4cuda20normal_and_transformIN3c104HalfEfPNS_17CUDAGeneratorImplEZZZNS4_17log_normal_kernelIS9_EEvRNS_18TensorIteratorBaseEddT_ENKUlvE_clEvENKUlvE1_clEvEUlfE_EEvSC_T1_T2_EUlP25hiprandStatePhilox4_32_10E_ZNS1_27distribution_nullary_kernelIS7_f15HIP_vector_typeIdLj2EES9_SL_SG_EEvSC_SI_RKT3_T4_EUlifE0_EEvlNS_15PhiloxCudaStateESH_SI_,@function
_ZN2at6native12_GLOBAL__N_143distribution_elementwise_grid_stride_kernelIfLi4EZNS0_9templates4cuda20normal_and_transformIN3c104HalfEfPNS_17CUDAGeneratorImplEZZZNS4_17log_normal_kernelIS9_EEvRNS_18TensorIteratorBaseEddT_ENKUlvE_clEvENKUlvE1_clEvEUlfE_EEvSC_T1_T2_EUlP25hiprandStatePhilox4_32_10E_ZNS1_27distribution_nullary_kernelIS7_f15HIP_vector_typeIdLj2EES9_SL_SG_EEvSC_SI_RKT3_T4_EUlifE0_EEvlNS_15PhiloxCudaStateESH_SI_: ; @_ZN2at6native12_GLOBAL__N_143distribution_elementwise_grid_stride_kernelIfLi4EZNS0_9templates4cuda20normal_and_transformIN3c104HalfEfPNS_17CUDAGeneratorImplEZZZNS4_17log_normal_kernelIS9_EEvRNS_18TensorIteratorBaseEddT_ENKUlvE_clEvENKUlvE1_clEvEUlfE_EEvSC_T1_T2_EUlP25hiprandStatePhilox4_32_10E_ZNS1_27distribution_nullary_kernelIS7_f15HIP_vector_typeIdLj2EES9_SL_SG_EEvSC_SI_RKT3_T4_EUlifE0_EEvlNS_15PhiloxCudaStateESH_SI_
; %bb.0:
	s_load_dword s3, s[0:1], 0x20
	s_load_dwordx2 s[4:5], s[0:1], 0x10
	s_load_dwordx4 s[24:27], s[0:1], 0x0
	s_mov_b32 s35, 0
	s_waitcnt lgkmcnt(0)
	s_bitcmp0_b32 s3, 0
	v_mov_b64_e32 v[2:3], s[4:5]
	v_mov_b64_e32 v[12:13], s[26:27]
	s_cbranch_scc1 .LBB9_2
; %bb.1:
	v_mov_b64_e32 v[4:5], s[4:5]
	v_mov_b64_e32 v[2:3], s[26:27]
	flat_load_dwordx2 v[6:7], v[4:5]
	flat_load_dwordx2 v[12:13], v[2:3]
	s_load_dwordx2 s[4:5], s[0:1], 0x18
	s_waitcnt vmcnt(0) lgkmcnt(0)
	v_lshl_add_u64 v[2:3], v[6:7], 0, s[4:5]
.LBB9_2:
	s_load_dword s4, s[0:1], 0x154
	s_load_dword s3, s[0:1], 0x148
	s_mov_b32 s6, s35
	s_waitcnt lgkmcnt(0)
	s_and_b32 s8, s4, 0xffff
	s_add_u32 s9, s24, -1
	s_mul_i32 s26, s3, s8
	s_addc_u32 s7, s25, -1
	s_lshl_b32 s34, s26, 2
	s_cmp_lg_u64 s[6:7], 0
	s_mov_b64 s[4:5], -1
	s_cbranch_scc0 .LBB9_83
; %bb.3:
	v_cvt_f32_u32_e32 v1, s34
	v_cvt_f32_ubyte0_e32 v4, 0
	s_sub_u32 s6, 0, s34
	s_subb_u32 s10, 0, 0
	v_fmamk_f32 v1, v4, 0x4f800000, v1
	v_rcp_f32_e32 v1, v1
	s_nop 0
	v_mul_f32_e32 v1, 0x5f7ffffc, v1
	v_mul_f32_e32 v4, 0x2f800000, v1
	v_trunc_f32_e32 v4, v4
	v_fmamk_f32 v1, v4, 0xcf800000, v1
	v_cvt_u32_f32_e32 v4, v4
	v_cvt_u32_f32_e32 v1, v1
	v_readfirstlane_b32 s11, v4
	v_readfirstlane_b32 s12, v1
	s_mul_i32 s13, s6, s11
	s_mul_hi_u32 s15, s6, s12
	s_mul_i32 s14, s10, s12
	s_add_i32 s13, s15, s13
	s_add_i32 s13, s13, s14
	s_mul_i32 s16, s6, s12
	s_mul_hi_u32 s14, s12, s13
	s_mul_i32 s15, s12, s13
	s_mul_hi_u32 s12, s12, s16
	s_add_u32 s12, s12, s15
	s_addc_u32 s14, 0, s14
	s_mul_hi_u32 s17, s11, s16
	s_mul_i32 s16, s11, s16
	s_add_u32 s12, s12, s16
	s_mul_hi_u32 s15, s11, s13
	s_addc_u32 s12, s14, s17
	s_addc_u32 s14, s15, 0
	s_mul_i32 s13, s11, s13
	s_add_u32 s12, s12, s13
	s_addc_u32 s13, 0, s14
	v_add_co_u32_e32 v1, vcc, s12, v1
	s_cmp_lg_u64 vcc, 0
	s_addc_u32 s11, s11, s13
	v_readfirstlane_b32 s13, v1
	s_mul_i32 s12, s6, s11
	s_mul_hi_u32 s14, s6, s13
	s_add_i32 s12, s14, s12
	s_mul_i32 s10, s10, s13
	s_add_i32 s12, s12, s10
	s_mul_i32 s6, s6, s13
	s_mul_hi_u32 s14, s11, s6
	s_mul_i32 s15, s11, s6
	s_mul_i32 s17, s13, s12
	s_mul_hi_u32 s6, s13, s6
	s_mul_hi_u32 s16, s13, s12
	s_add_u32 s6, s6, s17
	s_addc_u32 s13, 0, s16
	s_add_u32 s6, s6, s15
	s_mul_hi_u32 s10, s11, s12
	s_addc_u32 s6, s13, s14
	s_addc_u32 s10, s10, 0
	s_mul_i32 s12, s11, s12
	s_add_u32 s6, s6, s12
	s_addc_u32 s10, 0, s10
	v_add_co_u32_e32 v1, vcc, s6, v1
	s_cmp_lg_u64 vcc, 0
	s_addc_u32 s12, s11, s10
	s_ashr_i32 s10, s7, 31
	s_add_u32 s6, s9, s10
	s_mov_b32 s11, s10
	s_addc_u32 s7, s7, s10
	s_xor_b64 s[6:7], s[6:7], s[10:11]
	v_readfirstlane_b32 s15, v1
	s_mul_i32 s14, s6, s12
	s_mul_hi_u32 s16, s6, s15
	s_mul_hi_u32 s13, s6, s12
	s_add_u32 s14, s16, s14
	s_addc_u32 s13, 0, s13
	s_mul_hi_u32 s17, s7, s15
	s_mul_i32 s15, s7, s15
	s_add_u32 s14, s14, s15
	s_mul_hi_u32 s16, s7, s12
	s_addc_u32 s13, s13, s17
	s_addc_u32 s14, s16, 0
	s_mul_i32 s12, s7, s12
	s_add_u32 s12, s13, s12
	s_addc_u32 s13, 0, s14
	s_add_u32 s14, s12, 1
	s_addc_u32 s15, s13, 0
	s_add_u32 s16, s12, 2
	s_mul_i32 s18, s34, s13
	s_mul_hi_u32 s19, s34, s12
	s_addc_u32 s17, s13, 0
	s_add_i32 s19, s19, s18
	s_mul_i32 s18, s34, s12
	v_mov_b32_e32 v1, s18
	v_sub_co_u32_e32 v1, vcc, s6, v1
	s_cmp_lg_u64 vcc, 0
	s_subb_u32 s6, s7, s19
	v_subrev_co_u32_e32 v4, vcc, s34, v1
	s_cmp_lg_u64 vcc, 0
	s_subb_u32 s7, s6, 0
	v_readfirstlane_b32 s18, v4
	s_cmp_ge_u32 s18, s34
	s_cselect_b32 s18, -1, 0
	s_cmp_eq_u32 s7, 0
	s_cselect_b32 s7, s18, -1
	s_cmp_lg_u32 s7, 0
	s_cselect_b32 s7, s17, s15
	v_readfirstlane_b32 s15, v1
	s_cselect_b32 s14, s16, s14
	s_cmp_ge_u32 s15, s34
	s_cselect_b32 s15, -1, 0
	s_cmp_eq_u32 s6, 0
	s_cselect_b32 s6, s15, -1
	s_cmp_lg_u32 s6, 0
	s_cselect_b32 s7, s7, s13
	s_cselect_b32 s6, s14, s12
	s_xor_b64 s[6:7], s[6:7], s[10:11]
	s_sub_u32 s6, s6, s10
	s_subb_u32 s7, s7, s10
	s_cbranch_execnz .LBB9_5
.LBB9_4:
	v_cvt_f32_u32_e32 v1, s34
	s_sub_i32 s4, 0, s34
	s_mov_b32 s7, 0
	v_rcp_iflag_f32_e32 v1, v1
	s_nop 0
	v_mul_f32_e32 v1, 0x4f7ffffe, v1
	v_cvt_u32_f32_e32 v1, v1
	s_nop 0
	v_readfirstlane_b32 s5, v1
	s_mul_i32 s4, s4, s5
	s_mul_hi_u32 s4, s5, s4
	s_add_i32 s5, s5, s4
	s_mul_hi_u32 s4, s9, s5
	s_mul_i32 s6, s4, s34
	s_sub_i32 s6, s9, s6
	s_add_i32 s5, s4, 1
	s_sub_i32 s9, s6, s34
	s_cmp_ge_u32 s6, s34
	s_cselect_b32 s4, s5, s4
	s_cselect_b32 s6, s9, s6
	s_add_i32 s5, s4, 1
	s_cmp_ge_u32 s6, s34
	s_cselect_b32 s6, s5, s4
.LBB9_5:
	v_mov_b32_e32 v1, 0
	v_mov_b32_e32 v4, s2
	v_mad_u64_u32 v[14:15], s[4:5], s8, v4, v[0:1]
	s_add_u32 s2, s6, 1
	s_addc_u32 s4, s7, 0
	s_mul_hi_u32 s3, s3, s8
	s_mul_i32 s4, s26, s4
	s_mul_hi_u32 s5, s26, s2
	s_add_i32 s4, s5, s4
	s_mul_i32 s3, s3, s2
	s_add_i32 s3, s4, s3
	s_mul_i32 s2, s26, s2
	s_lshl_b64 s[44:45], s[2:3], 2
	v_cmp_gt_i64_e32 vcc, s[44:45], v[14:15]
	s_and_saveexec_b64 s[2:3], vcc
	s_cbranch_execz .LBB9_82
; %bb.6:
	v_mov_b32_e32 v0, v13
	s_mov_b64 s[2:3], 0xdb3d7428
	v_lshl_add_u64 v[16:17], v[0:1], 0, s[2:3]
	s_mov_b64 s[2:3], 0x5384540f
	v_lshl_add_u64 v[18:19], v[12:13], 0, s[2:3]
	s_mov_b64 s[2:3], 0x646e171e
	v_lshl_add_u64 v[20:21], v[0:1], 0, s[2:3]
	s_mov_b64 s[2:3], 0x1715609d
	v_lshl_add_u64 v[22:23], v[12:13], 0, s[2:3]
	s_mov_b64 s[2:3], 0xed9eba14
	v_lshl_add_u64 v[24:25], v[0:1], 0, s[2:3]
	s_mov_b64 s[2:3], 0xdaa66d2b
	v_lshl_add_u64 v[26:27], v[12:13], 0, s[2:3]
	s_mov_b64 s[2:3], 0x76cf5d0a
	v_lshl_add_u64 v[28:29], v[0:1], 0, s[2:3]
	s_mov_b64 s[2:3], 0x9e3779b9
	v_alignbit_b32 v17, v3, v2, 2
	s_mov_b32 s33, 0xd2511f53
	v_lshl_add_u64 v[30:31], v[12:13], 0, s[2:3]
	v_mad_u64_u32 v[4:5], s[2:3], v17, s33, 0
	v_and_b32_e32 v88, 3, v2
	v_xor_b32_e32 v2, v5, v13
	v_xor_b32_e32 v2, v2, v15
	s_mov_b32 s90, 0xcd9e8d57
	v_mad_u64_u32 v[6:7], s[2:3], v2, s90, 0
	v_xor_b32_e32 v2, v30, v7
	v_mad_u64_u32 v[8:9], s[2:3], v14, s90, 0
	v_xor_b32_e32 v2, v2, v8
	;; [unrolled: 2-line block ×3, first 2 shown]
	v_lshrrev_b32_e32 v19, 2, v3
	v_xor_b32_e32 v2, v2, v19
	v_xor_b32_e32 v5, v28, v11
	v_mad_u64_u32 v[2:3], s[2:3], v2, s33, 0
	v_xor_b32_e32 v2, v5, v2
	v_mad_u64_u32 v[8:9], s[2:3], v2, s90, 0
	s_mov_b64 s[2:3], 0xbb67ae85
	s_nop 0
	v_lshl_add_u64 v[32:33], v[0:1], 0, s[2:3]
	v_xor_b32_e32 v2, v32, v3
	v_xor_b32_e32 v2, v2, v4
	v_xor_b32_e32 v5, v26, v9
	v_mad_u64_u32 v[2:3], s[2:3], v2, s90, 0
	v_xor_b32_e32 v2, v5, v2
	v_mad_u64_u32 v[4:5], s[2:3], v2, s33, 0
	s_mov_b64 s[2:3], 0x3c6ef372
	s_nop 0
	v_lshl_add_u64 v[34:35], v[12:13], 0, s[2:3]
	v_xor_b32_e32 v2, v34, v3
	;; [unrolled: 9-line block ×7, first 2 shown]
	v_xor_b32_e32 v0, v0, v10
	v_mad_u64_u32 v[2:3], s[2:3], v0, s90, 0
	s_mov_b64 s[2:3], 0xf1bbcdc8
	v_add_u32_e32 v89, 0x8ff34781, v12
	v_xor_b32_e32 v0, v49, v2
	v_lshl_add_u64 v[46:47], v[12:13], 0, s[2:3]
	v_xor_b32_e32 v6, v89, v0
	v_xor_b32_e32 v0, v46, v3
	v_xor_b32_e32 v0, v0, v8
	s_load_dwordx8 s[8:15], s[0:1], 0x30
	v_mad_u64_u32 v[2:3], s[2:3], v0, s33, 0
	v_add_u32_e32 v90, 0x96a522ad, v13
	v_xor_b32_e32 v0, v3, v4
	v_xor_b32_e32 v8, v90, v0
	v_mov_b32_e32 v9, v2
	v_mov_b32_e32 v0, 0xffc00000
	;; [unrolled: 1-line block ×3, first 2 shown]
	s_add_u32 s46, s0, 48
	v_fmac_f32_e32 v0, s0, v2
	v_mov_b32_e32 v2, 0x32a5705f
	s_addc_u32 s47, s1, 0
	s_waitcnt lgkmcnt(0)
	s_add_i32 s2, s8, -1
	v_fmac_f32_e32 v0, s0, v2
	v_rndne_f32_e32 v2, 0x7fc00000
	s_cmp_gt_u32 s2, 1
	v_sub_f32_e32 v3, 0x7fc00000, v2
	s_cselect_b64 s[48:49], -1, 0
	s_cmp_lg_u32 s8, 0
	v_add_f32_e32 v0, v3, v0
	s_cselect_b64 s[50:51], -1, 0
	s_add_u32 s52, s0, 0xf4
	v_exp_f32_e32 v0, v0
	v_cvt_i32_f32_e32 v2, v2
	s_addc_u32 s53, s1, 0
	s_min_u32 s3, s2, 15
	s_cmp_gt_u32 s8, 1
	s_cselect_b64 s[54:55], -1, 0
	s_add_i32 s3, s3, 1
	s_load_dwordx2 s[56:57], s[0:1], 0xf4
	s_load_dwordx4 s[28:31], s[0:1], 0x138
	s_lshl_b32 s58, s26, 1
	v_ldexp_f32 v0, v0, v2
	s_and_b32 s15, s3, 3
	v_cvt_f16_f32_e32 v21, v0
	s_cmp_lg_u32 s2, 2
	s_cselect_b64 s[62:63], -1, 0
	s_and_b32 s91, s3, 28
	s_mov_b32 s27, 0
	s_cmp_lg_u32 s15, 0
	s_mov_b32 s68, 0x55555555
	s_mov_b32 s70, 0xbf559e2b
	;; [unrolled: 1-line block ×9, first 2 shown]
	v_mov_b32_e32 v7, v48
	s_mov_b32 s8, s13
	s_mov_b32 s59, s27
	;; [unrolled: 1-line block ×3, first 2 shown]
	s_mul_i32 s60, s26, 3
	s_mov_b32 s61, s27
	s_mov_b64 s[64:65], 0
	s_cselect_b64 s[66:67], -1, 0
	s_mov_b32 s69, 0x3fe55555
	s_mov_b32 s71, 0x3fc3ab76
	;; [unrolled: 1-line block ×5, first 2 shown]
	s_brev_b32 s79, 8
	s_mov_b32 s81, 0x3f3e357e
	s_mov_b32 s83, 0x400921fb
	;; [unrolled: 1-line block ×5, first 2 shown]
	v_mov_b32_e32 v48, 0x6b47b09a
	v_mov_b32_e32 v49, 0x3fc38538
	;; [unrolled: 1-line block ×41, first 2 shown]
	s_branch .LBB9_9
.LBB9_7:                                ;   in Loop: Header=BB9_9 Depth=1
	s_waitcnt lgkmcnt(0)
	global_store_short v8, v21, s[28:29]
.LBB9_8:                                ;   in Loop: Header=BB9_9 Depth=1
	s_or_b64 exec, exec, s[36:37]
	v_mov_b32_e32 v5, v82
	v_lshl_add_u64 v[14:15], v[14:15], 0, s[34:35]
	v_cmp_le_i64_e32 vcc, s[44:45], v[14:15]
	v_mov_b64_e32 v[8:9], v[4:5]
	s_or_b64 s[64:65], vcc, s[64:65]
	v_mov_b64_e32 v[6:7], v[2:3]
	s_waitcnt lgkmcnt(0)
	s_barrier
	s_andn2_b64 exec, exec, s[64:65]
	s_cbranch_execz .LBB9_82
.LBB9_9:                                ; =>This Loop Header: Depth=1
                                        ;     Child Loop BB9_24 Depth 2
                                        ;     Child Loop BB9_30 Depth 2
                                        ;     Child Loop BB9_40 Depth 2
                                        ;     Child Loop BB9_46 Depth 2
                                        ;     Child Loop BB9_56 Depth 2
                                        ;     Child Loop BB9_62 Depth 2
                                        ;     Child Loop BB9_72 Depth 2
                                        ;     Child Loop BB9_78 Depth 2
	v_add_co_u32_e32 v17, vcc, 1, v17
	v_mad_u64_u32 v[2:3], s[0:1], v17, s33, 0
	s_nop 0
	v_cndmask_b32_e64 v0, 0, 1, vcc
	v_addc_co_u32_e32 v19, vcc, 0, v19, vcc
	v_cmp_eq_u32_e32 vcc, 0, v19
	v_xor_b32_e32 v3, v3, v13
	s_nop 0
	v_cndmask_b32_e32 v0, 0, v0, vcc
	v_add_u32_e32 v33, v0, v33
	v_cmp_eq_u32_e32 vcc, 0, v33
	v_mad_u64_u32 v[4:5], s[0:1], v33, s90, 0
	s_nop 0
	v_cndmask_b32_e32 v0, 0, v0, vcc
	v_add_u32_e32 v35, v0, v35
	v_xor_b32_e32 v0, v5, v12
	v_xor_b32_e32 v0, v19, v0
	v_xor_b32_e32 v3, v35, v3
	v_mad_u64_u32 v[10:11], s[0:1], v0, s33, 0
	v_mad_u64_u32 v[82:83], s[0:1], v3, s90, 0
	v_xor_b32_e32 v0, v30, v83
	v_xor_b32_e32 v3, v32, v11
	v_xor_b32_e32 v0, v0, v4
	v_xor_b32_e32 v4, v3, v2
	v_mad_u64_u32 v[2:3], s[0:1], v0, s33, 0
	v_mad_u64_u32 v[4:5], s[0:1], v4, s90, 0
	v_xor_b32_e32 v0, v34, v5
	;; [unrolled: 6-line block ×9, first 2 shown]
	v_xor_b32_e32 v2, v89, v0
	v_xor_b32_e32 v0, v83, v4
	;; [unrolled: 1-line block ×3, first 2 shown]
	v_mov_b32_e32 v3, v10
	v_mov_b32_e32 v4, v11
	v_cmp_lt_i32_e32 vcc, 1, v88
	s_and_saveexec_b64 s[0:1], vcc
	s_xor_b64 s[0:1], exec, s[0:1]
	s_cbranch_execz .LBB9_15
; %bb.10:                               ;   in Loop: Header=BB9_9 Depth=1
	v_cmp_lt_i32_e32 vcc, 2, v88
	s_and_saveexec_b64 s[2:3], vcc
	s_xor_b64 s[2:3], exec, s[2:3]
; %bb.11:                               ;   in Loop: Header=BB9_9 Depth=1
	v_mov_b32_e32 v8, v9
	v_mov_b32_e32 v9, v2
	v_mov_b64_e32 v[6:7], v[8:9]
	v_mov_b64_e32 v[8:9], v[10:11]
                                        ; implicit-def: $vgpr10_vgpr11
; %bb.12:                               ;   in Loop: Header=BB9_9 Depth=1
	s_andn2_saveexec_b64 s[2:3], s[2:3]
; %bb.13:                               ;   in Loop: Header=BB9_9 Depth=1
	v_mov_b32_e32 v6, v8
	v_mov_b32_e32 v7, v9
	;; [unrolled: 1-line block ×4, first 2 shown]
; %bb.14:                               ;   in Loop: Header=BB9_9 Depth=1
	s_or_b64 exec, exec, s[2:3]
.LBB9_15:                               ;   in Loop: Header=BB9_9 Depth=1
	s_andn2_saveexec_b64 s[0:1], s[0:1]
	s_cbranch_execz .LBB9_19
; %bb.16:                               ;   in Loop: Header=BB9_9 Depth=1
	v_cmp_eq_u32_e32 vcc, 1, v88
	s_and_saveexec_b64 s[2:3], vcc
; %bb.17:                               ;   in Loop: Header=BB9_9 Depth=1
	v_mov_b32_e32 v6, v7
	v_mov_b32_e32 v7, v8
	;; [unrolled: 1-line block ×4, first 2 shown]
; %bb.18:                               ;   in Loop: Header=BB9_9 Depth=1
	s_or_b64 exec, exec, s[2:3]
.LBB9_19:                               ;   in Loop: Header=BB9_9 Depth=1
	s_or_b64 exec, exec, s[0:1]
	v_mov_b32_e32 v0, v7
	v_lshlrev_b64 v[10:11], 21, v[0:1]
	v_xor_b32_e32 v0, v10, v6
	v_cvt_f64_u32_e32 v[6:7], v11
	v_ldexp_f64 v[6:7], v[6:7], 32
	v_cvt_f64_u32_e32 v[10:11], v0
	v_add_f64 v[6:7], v[6:7], v[10:11]
	v_mov_b32_e32 v10, 0
	v_mov_b32_e32 v11, 0x3ca00000
	v_fmac_f64_e32 v[10:11], 0x3ca00000, v[6:7]
	v_frexp_mant_f64_e32 v[84:85], v[10:11]
	v_cmp_gt_f64_e32 vcc, s[68:69], v[84:85]
	v_mov_b32_e32 v5, 0x3ff00000
	v_mov_b32_e32 v86, v1
	v_cndmask_b32_e64 v87, v5, 2.0, vcc
	v_mul_f64 v[84:85], v[84:85], v[86:87]
	v_add_f64 v[86:87], v[84:85], 1.0
	v_rcp_f64_e32 v[92:93], v[86:87]
	v_add_f64 v[96:97], v[86:87], -1.0
	v_add_f64 v[94:95], v[84:85], -1.0
	v_add_f64 v[84:85], v[84:85], -v[96:97]
	v_fma_f64 v[96:97], -v[86:87], v[92:93], 1.0
	v_fmac_f64_e32 v[92:93], v[96:97], v[92:93]
	v_fma_f64 v[96:97], -v[86:87], v[92:93], 1.0
	v_fmac_f64_e32 v[92:93], v[96:97], v[92:93]
	v_mul_f64 v[96:97], v[94:95], v[92:93]
	v_mul_f64 v[98:99], v[86:87], v[96:97]
	v_fma_f64 v[86:87], v[96:97], v[86:87], -v[98:99]
	v_fmac_f64_e32 v[86:87], v[96:97], v[84:85]
	v_add_f64 v[84:85], v[98:99], v[86:87]
	v_add_f64 v[100:101], v[94:95], -v[84:85]
	v_add_f64 v[98:99], v[84:85], -v[98:99]
	;; [unrolled: 1-line block ×5, first 2 shown]
	v_add_f64 v[84:85], v[86:87], v[84:85]
	v_add_f64 v[84:85], v[100:101], v[84:85]
	v_mul_f64 v[84:85], v[92:93], v[84:85]
	v_add_f64 v[86:87], v[96:97], v[84:85]
	v_add_f64 v[92:93], v[86:87], -v[96:97]
	v_add_f64 v[84:85], v[84:85], -v[92:93]
	v_mul_f64 v[92:93], v[86:87], v[86:87]
	v_mov_b64_e32 v[94:95], v[48:49]
	v_fmac_f64_e32 v[94:95], s[70:71], v[92:93]
	v_mov_b64_e32 v[96:97], v[50:51]
	v_fmac_f64_e32 v[96:97], v[92:93], v[94:95]
	;; [unrolled: 2-line block ×6, first 2 shown]
	v_ldexp_f64 v[94:95], v[86:87], 1
	v_mul_f64 v[86:87], v[86:87], v[92:93]
	v_mul_f64 v[86:87], v[86:87], v[96:97]
	v_add_f64 v[92:93], v[94:95], v[86:87]
	v_mov_b32_e32 v0, v9
	v_add_f64 v[94:95], v[92:93], -v[94:95]
	v_lshlrev_b64 v[6:7], 21, v[0:1]
	v_ldexp_f64 v[84:85], v[84:85], 1
	v_add_f64 v[86:87], v[86:87], -v[94:95]
	v_xor_b32_e32 v0, v6, v8
	v_add_f64 v[84:85], v[84:85], v[86:87]
	v_cvt_f64_u32_e32 v[8:9], v0
	v_frexp_exp_i32_f64_e32 v0, v[10:11]
	v_add_f64 v[86:87], v[92:93], v[84:85]
	v_subbrev_co_u32_e32 v0, vcc, 0, v0, vcc
	v_add_f64 v[92:93], v[86:87], -v[92:93]
	v_add_f64 v[84:85], v[84:85], -v[92:93]
	v_cvt_f64_i32_e32 v[92:93], v0
	v_mul_f64 v[94:95], v[92:93], s[72:73]
	v_fma_f64 v[96:97], v[92:93], s[72:73], -v[94:95]
	v_fmac_f64_e32 v[96:97], s[74:75], v[92:93]
	v_add_f64 v[92:93], v[94:95], v[96:97]
	v_add_f64 v[94:95], v[92:93], -v[94:95]
	v_add_f64 v[94:95], v[96:97], -v[94:95]
	v_add_f64 v[96:97], v[92:93], v[86:87]
	v_add_f64 v[98:99], v[96:97], -v[92:93]
	v_add_f64 v[100:101], v[96:97], -v[98:99]
	;; [unrolled: 1-line block ×4, first 2 shown]
	v_add_f64 v[86:87], v[86:87], v[92:93]
	v_add_f64 v[92:93], v[94:95], v[84:85]
	v_add_f64 v[98:99], v[92:93], -v[94:95]
	v_add_f64 v[100:101], v[92:93], -v[98:99]
	v_add_f64 v[86:87], v[92:93], v[86:87]
	v_add_f64 v[94:95], v[94:95], -v[100:101]
	v_add_f64 v[84:85], v[84:85], -v[98:99]
	v_add_f64 v[92:93], v[96:97], v[86:87]
	v_add_f64 v[84:85], v[84:85], v[94:95]
	v_add_f64 v[94:95], v[92:93], -v[96:97]
	v_add_f64 v[86:87], v[86:87], -v[94:95]
	v_add_f64 v[84:85], v[84:85], v[86:87]
	v_add_f64 v[84:85], v[92:93], v[84:85]
	v_cmp_eq_f64_e32 vcc, s[76:77], v[10:11]
	v_cvt_f64_u32_e32 v[6:7], v7
	v_ldexp_f64 v[6:7], v[6:7], 32
	v_cndmask_b32_e32 v85, v85, v11, vcc
	v_cndmask_b32_e32 v84, v84, v10, vcc
	v_mul_f64 v[84:85], v[84:85], -2.0
	v_cmp_neq_f64_e32 vcc, 0, v[10:11]
	v_add_f64 v[6:7], v[6:7], v[8:9]
	s_nop 0
	v_cndmask_b32_e32 v11, v25, v85, vcc
	v_cndmask_b32_e32 v10, 0, v84, vcc
	v_cmp_gt_f64_e32 vcc, s[78:79], v[10:11]
	v_mov_b32_e32 v84, 0
	v_mov_b32_e32 v85, 0x3cb00000
	v_cndmask_b32_e64 v0, 0, 1, vcc
	v_lshlrev_b32_e32 v0, 8, v0
	v_ldexp_f64 v[10:11], v[10:11], v0
	v_rsq_f64_e32 v[86:87], v[10:11]
	v_fmac_f64_e32 v[84:85], 0x3cb00000, v[6:7]
	v_cndmask_b32_e32 v0, 0, v27, vcc
	v_cmp_class_f64_e32 vcc, v[10:11], v23
	v_mul_f64 v[6:7], v[10:11], v[86:87]
	v_mul_f64 v[8:9], v[86:87], 0.5
	v_fma_f64 v[86:87], -v[8:9], v[6:7], 0.5
	v_fmac_f64_e32 v[6:7], v[6:7], v[86:87]
	v_fma_f64 v[92:93], -v[6:7], v[6:7], v[10:11]
	v_fmac_f64_e32 v[8:9], v[8:9], v[86:87]
	v_fmac_f64_e32 v[6:7], v[92:93], v[8:9]
	v_fma_f64 v[86:87], -v[6:7], v[6:7], v[10:11]
	v_fmac_f64_e32 v[6:7], v[86:87], v[8:9]
	v_ldexp_f64 v[6:7], v[6:7], v0
	v_mul_f64 v[8:9], v[84:85], 0.5
	v_cndmask_b32_e32 v7, v7, v11, vcc
	v_cndmask_b32_e32 v6, v6, v10, vcc
	v_fract_f64_e32 v[10:11], v[8:9]
	v_add_f64 v[10:11], v[10:11], v[10:11]
	v_cmp_neq_f64_e32 vcc, s[76:77], v[8:9]
	v_mov_b64_e32 v[92:93], v[62:63]
	v_cmp_lg_f64_e64 s[2:3], s[76:77], v[84:85]
	v_cndmask_b32_e32 v0, 0, v10, vcc
	v_cndmask_b32_e32 v5, 0, v11, vcc
	v_cmp_lt_f64_e32 vcc, 1.0, v[84:85]
	s_nop 1
	v_cndmask_b32_e32 v11, v85, v5, vcc
	v_cndmask_b32_e32 v10, v84, v0, vcc
	v_add_f64 v[8:9], v[10:11], v[10:11]
	v_rndne_f64_e32 v[8:9], v[8:9]
	v_fmac_f64_e32 v[10:11], -0.5, v[8:9]
	v_cvt_i32_f64_e32 v5, v[8:9]
	v_mul_f64 v[86:87], v[10:11], v[10:11]
	v_mov_b64_e32 v[8:9], v[60:61]
	v_fmac_f64_e32 v[8:9], s[80:81], v[86:87]
	v_fmac_f64_e32 v[92:93], v[86:87], v[8:9]
	v_mov_b64_e32 v[8:9], v[64:65]
	v_fmac_f64_e32 v[8:9], v[86:87], v[92:93]
	v_mov_b64_e32 v[92:93], v[66:67]
	;; [unrolled: 2-line block ×3, first 2 shown]
	v_fmac_f64_e32 v[8:9], v[86:87], v[92:93]
	v_mul_f64 v[92:93], v[10:11], v[86:87]
	v_mul_f64 v[8:9], v[92:93], v[8:9]
	v_fmac_f64_e32 v[8:9], s[82:83], v[10:11]
	v_mov_b64_e32 v[10:11], v[70:71]
	v_fmac_f64_e32 v[10:11], s[84:85], v[86:87]
	v_mov_b64_e32 v[92:93], v[72:73]
	;; [unrolled: 2-line block ×6, first 2 shown]
	v_lshlrev_b32_e32 v0, 30, v5
	v_and_b32_e32 v5, 1, v5
	v_fmac_f64_e32 v[92:93], v[86:87], v[10:11]
	v_cmp_eq_u32_e64 s[4:5], 0, v5
	v_cndmask_b32_e64 v5, 0, 1, s[48:49]
	v_fma_f64 v[10:11], v[86:87], v[92:93], 1.0
	v_cmp_gt_i64_e32 vcc, s[24:25], v[14:15]
	v_cmp_ne_u32_e64 s[0:1], 1, v5
	s_and_saveexec_b64 s[6:7], vcc
	s_cbranch_execz .LBB9_35
; %bb.20:                               ;   in Loop: Header=BB9_9 Depth=1
	s_and_b64 vcc, exec, s[0:1]
	s_cbranch_vccnz .LBB9_26
; %bb.21:                               ;   in Loop: Header=BB9_9 Depth=1
	s_andn2_b64 vcc, exec, s[50:51]
	s_cbranch_vccnz .LBB9_27
; %bb.22:                               ;   in Loop: Header=BB9_9 Depth=1
	s_mov_b32 s18, 0
	s_andn2_b64 vcc, exec, s[62:63]
	v_mov_b32_e32 v86, 0
	s_cbranch_vccnz .LBB9_28
; %bb.23:                               ;   in Loop: Header=BB9_9 Depth=1
	s_mov_b32 s94, 0
	v_mov_b32_e32 v86, 0
	s_mov_b64 s[86:87], s[46:47]
	s_mov_b64 s[88:89], s[52:53]
	v_mov_b32_e32 v5, v14
.LBB9_24:                               ;   Parent Loop BB9_9 Depth=1
                                        ; =>  This Inner Loop Header: Depth=2
	s_load_dwordx8 s[16:23], s[86:87], 0x4
	s_load_dwordx4 s[36:39], s[86:87], 0x24
	s_load_dwordx4 s[40:43], s[88:89], 0x0
	s_add_u32 s86, s86, 48
	s_addc_u32 s87, s87, 0
	s_waitcnt lgkmcnt(0)
	v_mul_hi_u32 v37, s17, v5
	v_add_u32_e32 v37, v5, v37
	v_lshrrev_b32_e32 v37, s18, v37
	v_mul_lo_u32 v39, v37, s16
	v_mul_hi_u32 v41, s20, v37
	v_sub_u32_e32 v5, v5, v39
	v_add_u32_e32 v39, v37, v41
	v_lshrrev_b32_e32 v39, s21, v39
	v_mul_lo_u32 v41, v39, s19
	v_mul_hi_u32 v43, s23, v39
	v_sub_u32_e32 v37, v37, v41
	v_add_u32_e32 v41, v39, v43
	v_mul_lo_u32 v5, v5, s40
	v_mul_lo_u32 v37, v37, s41
	v_lshrrev_b32_e32 v41, s36, v41
	v_add3_u32 v37, v5, v86, v37
	v_mul_lo_u32 v5, v41, s22
	v_mul_hi_u32 v43, s38, v41
	v_sub_u32_e32 v5, v39, v5
	v_add_u32_e32 v39, v41, v43
	v_mul_lo_u32 v43, v5, s42
	v_lshrrev_b32_e32 v5, s39, v39
	s_add_i32 s94, s94, 4
	v_mul_lo_u32 v39, v5, s37
	s_add_u32 s88, s88, 16
	v_sub_u32_e32 v39, v41, v39
	s_addc_u32 s89, s89, 0
	v_mul_lo_u32 v39, v39, s43
	s_cmp_lg_u32 s91, s94
	v_add3_u32 v86, v43, v37, v39
	s_cbranch_scc1 .LBB9_24
; %bb.25:                               ;   in Loop: Header=BB9_9 Depth=1
	s_mov_b32 s18, s91
	s_andn2_b64 vcc, exec, s[66:67]
	s_cbranch_vccz .LBB9_29
	s_branch .LBB9_31
.LBB9_26:                               ;   in Loop: Header=BB9_9 Depth=1
                                        ; implicit-def: $vgpr86
	s_branch .LBB9_32
.LBB9_27:                               ;   in Loop: Header=BB9_9 Depth=1
	v_mov_b32_e32 v86, 0
	s_branch .LBB9_31
.LBB9_28:                               ;   in Loop: Header=BB9_9 Depth=1
	v_mov_b32_e32 v5, v14
	s_andn2_b64 vcc, exec, s[66:67]
	s_cbranch_vccnz .LBB9_31
.LBB9_29:                               ;   in Loop: Header=BB9_9 Depth=1
	s_lshl_b32 s16, s18, 2
	s_add_u32 s16, s52, s16
	s_addc_u32 s17, s53, 0
	s_mul_i32 s18, s18, 12
	s_add_u32 s18, s46, s18
	s_addc_u32 s19, s47, 0
	s_mov_b32 s20, s15
.LBB9_30:                               ;   Parent Loop BB9_9 Depth=1
                                        ; =>  This Inner Loop Header: Depth=2
	s_load_dwordx2 s[22:23], s[18:19], 0x4
	s_load_dword s21, s[18:19], 0xc
	s_load_dword s36, s[16:17], 0x0
	s_add_u32 s18, s18, 12
	s_addc_u32 s19, s19, 0
	s_waitcnt lgkmcnt(0)
	v_mul_hi_u32 v37, s23, v5
	v_add_u32_e32 v37, v5, v37
	v_lshrrev_b32_e32 v37, s21, v37
	s_add_u32 s16, s16, 4
	v_mul_lo_u32 v39, v37, s22
	s_addc_u32 s17, s17, 0
	s_add_i32 s20, s20, -1
	v_sub_u32_e32 v39, v5, v39
	s_cmp_lg_u32 s20, 0
	v_mov_b32_e32 v5, v37
	v_mad_u64_u32 v[86:87], s[22:23], v39, s36, v[86:87]
	s_cbranch_scc1 .LBB9_30
.LBB9_31:                               ;   in Loop: Header=BB9_9 Depth=1
	s_cbranch_execnz .LBB9_34
.LBB9_32:                               ;   in Loop: Header=BB9_9 Depth=1
	v_mul_hi_u32 v5, v14, s10
	v_add_u32_e32 v5, v5, v14
	v_lshrrev_b32_e32 v5, s11, v5
	v_mul_lo_u32 v37, v5, s9
	v_sub_u32_e32 v37, v14, v37
	s_andn2_b64 vcc, exec, s[54:55]
	s_waitcnt lgkmcnt(0)
	v_mul_lo_u32 v86, v37, s56
	s_cbranch_vccnz .LBB9_34
; %bb.33:                               ;   in Loop: Header=BB9_9 Depth=1
	v_mul_hi_u32 v37, s8, v5
	v_add_u32_e32 v37, v5, v37
	v_lshrrev_b32_e32 v37, s14, v37
	v_mul_lo_u32 v37, v37, s12
	v_sub_u32_e32 v5, v5, v37
	v_mad_u64_u32 v[86:87], s[16:17], v5, s57, v[86:87]
.LBB9_34:                               ;   in Loop: Header=BB9_9 Depth=1
	v_xor_b32_e32 v39, v0, v85
	v_cndmask_b32_e64 v37, v11, v9, s[4:5]
	v_and_b32_e32 v39, 0x80000000, v39
	v_cndmask_b32_e64 v5, v10, v8, s[4:5]
	v_xor_b32_e32 v37, v37, v39
	v_cndmask_b32_e64 v84, 0, v5, s[2:3]
	v_cndmask_b32_e64 v85, v29, v37, s[2:3]
	v_mul_f64 v[84:85], v[6:7], v[84:85]
	v_cvt_f32_f64_e32 v5, v[84:85]
	s_waitcnt lgkmcnt(0)
	v_mov_b32_e32 v37, s30
	v_fma_f32 v5, s31, v5, v37
	v_mul_f32_e32 v37, 0x3fb8aa3b, v5
	v_fma_f32 v39, v5, s13, -v37
	v_rndne_f32_e32 v41, v37
	v_fmac_f32_e32 v39, 0x32a5705f, v5
	v_sub_f32_e32 v37, v37, v41
	v_add_f32_e32 v37, v37, v39
	v_exp_f32_e32 v37, v37
	v_cvt_i32_f32_e32 v39, v41
	v_cmp_ngt_f32_e32 vcc, s92, v5
	v_ldexp_f32 v37, v37, v39
	s_nop 0
	v_cndmask_b32_e32 v37, 0, v37, vcc
	v_cmp_nlt_f32_e32 vcc, s93, v5
	s_nop 1
	v_cndmask_b32_e32 v5, v31, v37, vcc
	v_cvt_f16_f32_e32 v5, v5
	global_store_short v86, v5, s[28:29]
.LBB9_35:                               ;   in Loop: Header=BB9_9 Depth=1
	s_or_b64 exec, exec, s[6:7]
	v_lshl_add_u64 v[86:87], v[14:15], 0, s[26:27]
	v_cmp_gt_i64_e32 vcc, s[24:25], v[86:87]
	s_and_saveexec_b64 s[6:7], vcc
	s_cbranch_execz .LBB9_51
; %bb.36:                               ;   in Loop: Header=BB9_9 Depth=1
	s_and_b64 vcc, exec, s[0:1]
	s_cbranch_vccnz .LBB9_42
; %bb.37:                               ;   in Loop: Header=BB9_9 Depth=1
	s_andn2_b64 vcc, exec, s[50:51]
	s_cbranch_vccnz .LBB9_43
; %bb.38:                               ;   in Loop: Header=BB9_9 Depth=1
	s_mov_b32 s18, 0
	s_andn2_b64 vcc, exec, s[62:63]
	v_mov_b32_e32 v84, 0
	s_cbranch_vccnz .LBB9_44
; %bb.39:                               ;   in Loop: Header=BB9_9 Depth=1
	s_mov_b32 s94, 0
	v_mov_b32_e32 v84, 0
	s_mov_b64 s[86:87], s[46:47]
	s_mov_b64 s[88:89], s[52:53]
	v_mov_b32_e32 v5, v86
.LBB9_40:                               ;   Parent Loop BB9_9 Depth=1
                                        ; =>  This Inner Loop Header: Depth=2
	s_load_dwordx8 s[16:23], s[86:87], 0x4
	s_load_dwordx4 s[36:39], s[86:87], 0x24
	s_load_dwordx4 s[40:43], s[88:89], 0x0
	s_add_u32 s86, s86, 48
	s_addc_u32 s87, s87, 0
	s_waitcnt lgkmcnt(0)
	v_mul_hi_u32 v37, s17, v5
	v_add_u32_e32 v37, v5, v37
	v_lshrrev_b32_e32 v37, s18, v37
	v_mul_lo_u32 v39, v37, s16
	v_mul_hi_u32 v41, s20, v37
	v_sub_u32_e32 v5, v5, v39
	v_add_u32_e32 v39, v37, v41
	v_lshrrev_b32_e32 v39, s21, v39
	v_mul_lo_u32 v41, v39, s19
	v_mul_hi_u32 v43, s23, v39
	v_sub_u32_e32 v37, v37, v41
	v_add_u32_e32 v41, v39, v43
	v_mul_lo_u32 v5, v5, s40
	v_mul_lo_u32 v37, v37, s41
	v_lshrrev_b32_e32 v41, s36, v41
	v_add3_u32 v37, v5, v84, v37
	v_mul_lo_u32 v5, v41, s22
	v_mul_hi_u32 v43, s38, v41
	v_sub_u32_e32 v5, v39, v5
	v_add_u32_e32 v39, v41, v43
	v_mul_lo_u32 v43, v5, s42
	v_lshrrev_b32_e32 v5, s39, v39
	s_add_i32 s94, s94, 4
	v_mul_lo_u32 v39, v5, s37
	s_add_u32 s88, s88, 16
	v_sub_u32_e32 v39, v41, v39
	s_addc_u32 s89, s89, 0
	v_mul_lo_u32 v39, v39, s43
	s_cmp_eq_u32 s91, s94
	v_add3_u32 v84, v43, v37, v39
	s_cbranch_scc0 .LBB9_40
; %bb.41:                               ;   in Loop: Header=BB9_9 Depth=1
	s_mov_b32 s18, s91
	s_andn2_b64 vcc, exec, s[66:67]
	s_cbranch_vccz .LBB9_45
	s_branch .LBB9_47
.LBB9_42:                               ;   in Loop: Header=BB9_9 Depth=1
                                        ; implicit-def: $vgpr84
	s_branch .LBB9_48
.LBB9_43:                               ;   in Loop: Header=BB9_9 Depth=1
	v_mov_b32_e32 v84, 0
	s_branch .LBB9_47
.LBB9_44:                               ;   in Loop: Header=BB9_9 Depth=1
	v_mov_b32_e32 v5, v86
	s_andn2_b64 vcc, exec, s[66:67]
	s_cbranch_vccnz .LBB9_47
.LBB9_45:                               ;   in Loop: Header=BB9_9 Depth=1
	s_lshl_b32 s16, s18, 2
	s_add_u32 s16, s52, s16
	s_addc_u32 s17, s53, 0
	s_mul_i32 s18, s18, 12
	s_add_u32 s18, s46, s18
	s_addc_u32 s19, s47, 0
	s_mov_b32 s20, s15
.LBB9_46:                               ;   Parent Loop BB9_9 Depth=1
                                        ; =>  This Inner Loop Header: Depth=2
	s_load_dwordx2 s[22:23], s[18:19], 0x4
	s_load_dword s21, s[18:19], 0xc
	s_load_dword s36, s[16:17], 0x0
	s_add_u32 s18, s18, 12
	s_addc_u32 s19, s19, 0
	s_waitcnt lgkmcnt(0)
	v_mul_hi_u32 v37, s23, v5
	v_add_u32_e32 v37, v5, v37
	v_lshrrev_b32_e32 v37, s21, v37
	s_add_u32 s16, s16, 4
	v_mul_lo_u32 v39, v37, s22
	s_addc_u32 s17, s17, 0
	s_add_i32 s20, s20, -1
	v_sub_u32_e32 v39, v5, v39
	s_cmp_lg_u32 s20, 0
	v_mov_b32_e32 v5, v37
	v_mad_u64_u32 v[84:85], s[22:23], v39, s36, v[84:85]
	s_cbranch_scc1 .LBB9_46
.LBB9_47:                               ;   in Loop: Header=BB9_9 Depth=1
	s_cbranch_execnz .LBB9_50
.LBB9_48:                               ;   in Loop: Header=BB9_9 Depth=1
	v_mul_hi_u32 v5, v86, s10
	v_add_u32_e32 v5, v5, v86
	v_lshrrev_b32_e32 v5, s11, v5
	v_mul_lo_u32 v37, v5, s9
	v_sub_u32_e32 v37, v86, v37
	s_andn2_b64 vcc, exec, s[54:55]
	s_waitcnt lgkmcnt(0)
	v_mul_lo_u32 v84, v37, s56
	s_cbranch_vccnz .LBB9_50
; %bb.49:                               ;   in Loop: Header=BB9_9 Depth=1
	v_mul_hi_u32 v37, s8, v5
	v_add_u32_e32 v37, v5, v37
	v_lshrrev_b32_e32 v37, s14, v37
	v_mul_lo_u32 v37, v37, s12
	v_sub_u32_e32 v5, v5, v37
	v_mad_u64_u32 v[84:85], s[16:17], v5, s57, v[84:85]
.LBB9_50:                               ;   in Loop: Header=BB9_9 Depth=1
	v_xor_b32_e32 v5, 0x80000000, v9
	v_and_b32_e32 v0, 0x80000000, v0
	v_cndmask_b32_e64 v5, v5, v11, s[4:5]
	v_cndmask_b32_e64 v8, v8, v10, s[4:5]
	v_xor_b32_e32 v0, v5, v0
	v_cndmask_b32_e64 v9, v29, v0, s[2:3]
	v_cndmask_b32_e64 v8, 0, v8, s[2:3]
	v_mul_f64 v[6:7], v[6:7], v[8:9]
	v_cvt_f32_f64_e32 v0, v[6:7]
	s_waitcnt lgkmcnt(0)
	v_mov_b32_e32 v5, s30
	v_fma_f32 v0, s31, v0, v5
	v_mul_f32_e32 v5, 0x3fb8aa3b, v0
	v_fma_f32 v6, v0, s13, -v5
	v_rndne_f32_e32 v7, v5
	v_fmac_f32_e32 v6, 0x32a5705f, v0
	v_sub_f32_e32 v5, v5, v7
	v_add_f32_e32 v5, v5, v6
	v_exp_f32_e32 v5, v5
	v_cvt_i32_f32_e32 v6, v7
	v_cmp_ngt_f32_e32 vcc, s92, v0
	v_ldexp_f32 v5, v5, v6
	s_nop 0
	v_cndmask_b32_e32 v5, 0, v5, vcc
	v_cmp_nlt_f32_e32 vcc, s93, v0
	s_nop 1
	v_cndmask_b32_e32 v0, v31, v5, vcc
	v_cvt_f16_f32_e32 v0, v0
	global_store_short v84, v0, s[28:29]
.LBB9_51:                               ;   in Loop: Header=BB9_9 Depth=1
	s_or_b64 exec, exec, s[6:7]
	v_lshl_add_u64 v[6:7], v[14:15], 0, s[58:59]
	v_cmp_gt_i64_e32 vcc, s[24:25], v[6:7]
	s_and_saveexec_b64 s[2:3], vcc
	s_cbranch_execz .LBB9_67
; %bb.52:                               ;   in Loop: Header=BB9_9 Depth=1
	s_and_b64 vcc, exec, s[0:1]
	s_cbranch_vccnz .LBB9_58
; %bb.53:                               ;   in Loop: Header=BB9_9 Depth=1
	s_andn2_b64 vcc, exec, s[50:51]
	s_cbranch_vccnz .LBB9_59
; %bb.54:                               ;   in Loop: Header=BB9_9 Depth=1
	s_mov_b32 s6, 0
	s_andn2_b64 vcc, exec, s[62:63]
	v_mov_b32_e32 v8, 0
	s_cbranch_vccnz .LBB9_60
; %bb.55:                               ;   in Loop: Header=BB9_9 Depth=1
	s_mov_b32 s86, 0
	v_mov_b32_e32 v8, 0
	s_mov_b64 s[40:41], s[46:47]
	s_mov_b64 s[42:43], s[52:53]
	v_mov_b32_e32 v0, v6
.LBB9_56:                               ;   Parent Loop BB9_9 Depth=1
                                        ; =>  This Inner Loop Header: Depth=2
	s_load_dwordx8 s[16:23], s[40:41], 0x4
	s_load_dwordx4 s[4:7], s[40:41], 0x24
	s_load_dwordx4 s[36:39], s[42:43], 0x0
	s_add_u32 s40, s40, 48
	s_addc_u32 s41, s41, 0
	s_waitcnt lgkmcnt(0)
	v_mul_hi_u32 v5, s17, v0
	v_add_u32_e32 v5, v0, v5
	v_lshrrev_b32_e32 v5, s18, v5
	v_mul_lo_u32 v7, v5, s16
	v_mul_hi_u32 v9, s20, v5
	v_sub_u32_e32 v0, v0, v7
	v_add_u32_e32 v7, v5, v9
	v_lshrrev_b32_e32 v7, s21, v7
	v_mul_lo_u32 v9, v7, s19
	v_mul_hi_u32 v10, s23, v7
	v_sub_u32_e32 v5, v5, v9
	v_add_u32_e32 v9, v7, v10
	v_mul_lo_u32 v0, v0, s36
	v_mul_lo_u32 v5, v5, s37
	v_lshrrev_b32_e32 v9, s4, v9
	v_add3_u32 v5, v0, v8, v5
	v_mul_lo_u32 v0, v9, s22
	v_mul_hi_u32 v8, s6, v9
	v_sub_u32_e32 v0, v7, v0
	v_add_u32_e32 v7, v9, v8
	v_mul_lo_u32 v8, v0, s38
	v_lshrrev_b32_e32 v0, s7, v7
	s_add_i32 s86, s86, 4
	v_mul_lo_u32 v7, v0, s5
	s_add_u32 s42, s42, 16
	v_sub_u32_e32 v7, v9, v7
	s_addc_u32 s43, s43, 0
	v_mul_lo_u32 v7, v7, s39
	s_cmp_eq_u32 s91, s86
	v_add3_u32 v8, v8, v5, v7
	s_cbranch_scc0 .LBB9_56
; %bb.57:                               ;   in Loop: Header=BB9_9 Depth=1
	s_mov_b32 s6, s91
	s_andn2_b64 vcc, exec, s[66:67]
	s_cbranch_vccz .LBB9_61
	s_branch .LBB9_63
.LBB9_58:                               ;   in Loop: Header=BB9_9 Depth=1
                                        ; implicit-def: $vgpr8
	s_branch .LBB9_64
.LBB9_59:                               ;   in Loop: Header=BB9_9 Depth=1
	v_mov_b32_e32 v8, 0
	s_branch .LBB9_63
.LBB9_60:                               ;   in Loop: Header=BB9_9 Depth=1
	v_mov_b32_e32 v0, v6
	s_andn2_b64 vcc, exec, s[66:67]
	s_cbranch_vccnz .LBB9_63
.LBB9_61:                               ;   in Loop: Header=BB9_9 Depth=1
	s_lshl_b32 s4, s6, 2
	s_add_u32 s4, s52, s4
	s_addc_u32 s5, s53, 0
	s_mul_i32 s6, s6, 12
	s_add_u32 s6, s46, s6
	s_addc_u32 s7, s47, 0
	s_mov_b32 s16, s15
.LBB9_62:                               ;   Parent Loop BB9_9 Depth=1
                                        ; =>  This Inner Loop Header: Depth=2
	s_load_dwordx2 s[18:19], s[6:7], 0x4
	s_load_dword s17, s[6:7], 0xc
	s_load_dword s20, s[4:5], 0x0
	s_add_u32 s6, s6, 12
	s_addc_u32 s7, s7, 0
	s_waitcnt lgkmcnt(0)
	v_mul_hi_u32 v5, s19, v0
	v_add_u32_e32 v5, v0, v5
	v_lshrrev_b32_e32 v5, s17, v5
	s_add_u32 s4, s4, 4
	v_mul_lo_u32 v7, v5, s18
	s_addc_u32 s5, s5, 0
	s_add_i32 s16, s16, -1
	v_sub_u32_e32 v7, v0, v7
	s_cmp_lg_u32 s16, 0
	v_mov_b32_e32 v0, v5
	v_mad_u64_u32 v[8:9], s[18:19], v7, s20, v[8:9]
	s_cbranch_scc1 .LBB9_62
.LBB9_63:                               ;   in Loop: Header=BB9_9 Depth=1
	s_cbranch_execnz .LBB9_66
.LBB9_64:                               ;   in Loop: Header=BB9_9 Depth=1
	v_mul_hi_u32 v0, v6, s10
	v_add_u32_e32 v0, v0, v6
	v_lshrrev_b32_e32 v0, s11, v0
	v_mul_lo_u32 v5, v0, s9
	v_sub_u32_e32 v5, v6, v5
	s_andn2_b64 vcc, exec, s[54:55]
	s_waitcnt lgkmcnt(0)
	v_mul_lo_u32 v8, v5, s56
	s_cbranch_vccnz .LBB9_66
; %bb.65:                               ;   in Loop: Header=BB9_9 Depth=1
	v_mul_hi_u32 v5, s8, v0
	v_add_u32_e32 v5, v0, v5
	v_lshrrev_b32_e32 v5, s14, v5
	v_mul_lo_u32 v5, v5, s12
	v_sub_u32_e32 v0, v0, v5
	v_mad_u64_u32 v[8:9], s[4:5], v0, s57, v[8:9]
.LBB9_66:                               ;   in Loop: Header=BB9_9 Depth=1
	s_waitcnt lgkmcnt(0)
	global_store_short v8, v21, s[28:29]
.LBB9_67:                               ;   in Loop: Header=BB9_9 Depth=1
	s_or_b64 exec, exec, s[2:3]
	v_lshl_add_u64 v[6:7], v[14:15], 0, s[60:61]
	v_cmp_gt_i64_e32 vcc, s[24:25], v[6:7]
	s_and_saveexec_b64 s[36:37], vcc
	s_cbranch_execz .LBB9_8
; %bb.68:                               ;   in Loop: Header=BB9_9 Depth=1
	s_and_b64 vcc, exec, s[0:1]
	s_cbranch_vccnz .LBB9_74
; %bb.69:                               ;   in Loop: Header=BB9_9 Depth=1
	s_andn2_b64 vcc, exec, s[50:51]
	s_cbranch_vccnz .LBB9_75
; %bb.70:                               ;   in Loop: Header=BB9_9 Depth=1
	s_mov_b32 s2, 0
	s_andn2_b64 vcc, exec, s[62:63]
	v_mov_b32_e32 v8, 0
	s_cbranch_vccnz .LBB9_76
; %bb.71:                               ;   in Loop: Header=BB9_9 Depth=1
	s_mov_b32 s42, 0
	v_mov_b32_e32 v8, 0
	s_mov_b64 s[38:39], s[46:47]
	s_mov_b64 s[40:41], s[52:53]
	v_mov_b32_e32 v0, v6
.LBB9_72:                               ;   Parent Loop BB9_9 Depth=1
                                        ; =>  This Inner Loop Header: Depth=2
	s_load_dwordx8 s[0:7], s[38:39], 0x4
	s_load_dwordx4 s[16:19], s[38:39], 0x24
	s_load_dwordx4 s[20:23], s[40:41], 0x0
	s_add_u32 s38, s38, 48
	s_addc_u32 s39, s39, 0
	s_waitcnt lgkmcnt(0)
	v_mul_hi_u32 v5, s1, v0
	v_add_u32_e32 v5, v0, v5
	v_lshrrev_b32_e32 v5, s2, v5
	v_mul_lo_u32 v7, v5, s0
	v_mul_hi_u32 v9, s4, v5
	v_sub_u32_e32 v0, v0, v7
	v_add_u32_e32 v7, v5, v9
	v_lshrrev_b32_e32 v7, s5, v7
	v_mul_lo_u32 v9, v7, s3
	v_mul_hi_u32 v10, s7, v7
	v_sub_u32_e32 v5, v5, v9
	v_add_u32_e32 v9, v7, v10
	v_mul_lo_u32 v0, v0, s20
	v_mul_lo_u32 v5, v5, s21
	v_lshrrev_b32_e32 v9, s16, v9
	v_add3_u32 v5, v0, v8, v5
	v_mul_lo_u32 v0, v9, s6
	v_mul_hi_u32 v8, s18, v9
	v_sub_u32_e32 v0, v7, v0
	v_add_u32_e32 v7, v9, v8
	v_mul_lo_u32 v8, v0, s22
	v_lshrrev_b32_e32 v0, s19, v7
	s_add_i32 s42, s42, 4
	v_mul_lo_u32 v7, v0, s17
	s_add_u32 s40, s40, 16
	v_sub_u32_e32 v7, v9, v7
	s_addc_u32 s41, s41, 0
	v_mul_lo_u32 v7, v7, s23
	s_cmp_eq_u32 s91, s42
	v_add3_u32 v8, v8, v5, v7
	s_cbranch_scc0 .LBB9_72
; %bb.73:                               ;   in Loop: Header=BB9_9 Depth=1
	s_mov_b32 s2, s91
	s_andn2_b64 vcc, exec, s[66:67]
	s_cbranch_vccz .LBB9_77
	s_branch .LBB9_79
.LBB9_74:                               ;   in Loop: Header=BB9_9 Depth=1
                                        ; implicit-def: $vgpr8
	s_branch .LBB9_80
.LBB9_75:                               ;   in Loop: Header=BB9_9 Depth=1
	v_mov_b32_e32 v8, 0
	s_branch .LBB9_79
.LBB9_76:                               ;   in Loop: Header=BB9_9 Depth=1
	v_mov_b32_e32 v0, v6
	s_andn2_b64 vcc, exec, s[66:67]
	s_cbranch_vccnz .LBB9_79
.LBB9_77:                               ;   in Loop: Header=BB9_9 Depth=1
	s_lshl_b32 s0, s2, 2
	s_add_u32 s0, s52, s0
	s_addc_u32 s1, s53, 0
	s_mul_i32 s2, s2, 12
	s_add_u32 s2, s46, s2
	s_addc_u32 s3, s47, 0
	s_mov_b32 s4, s15
.LBB9_78:                               ;   Parent Loop BB9_9 Depth=1
                                        ; =>  This Inner Loop Header: Depth=2
	s_load_dwordx2 s[6:7], s[2:3], 0x4
	s_load_dword s5, s[2:3], 0xc
	s_load_dword s16, s[0:1], 0x0
	s_add_u32 s2, s2, 12
	s_addc_u32 s3, s3, 0
	s_waitcnt lgkmcnt(0)
	v_mul_hi_u32 v5, s7, v0
	v_add_u32_e32 v5, v0, v5
	v_lshrrev_b32_e32 v5, s5, v5
	s_add_u32 s0, s0, 4
	v_mul_lo_u32 v7, v5, s6
	s_addc_u32 s1, s1, 0
	s_add_i32 s4, s4, -1
	v_sub_u32_e32 v7, v0, v7
	s_cmp_lg_u32 s4, 0
	v_mov_b32_e32 v0, v5
	v_mad_u64_u32 v[8:9], s[6:7], v7, s16, v[8:9]
	s_cbranch_scc1 .LBB9_78
.LBB9_79:                               ;   in Loop: Header=BB9_9 Depth=1
	s_cbranch_execnz .LBB9_7
.LBB9_80:                               ;   in Loop: Header=BB9_9 Depth=1
	v_mul_hi_u32 v0, v6, s10
	v_add_u32_e32 v0, v0, v6
	v_lshrrev_b32_e32 v0, s11, v0
	v_mul_lo_u32 v5, v0, s9
	v_sub_u32_e32 v5, v6, v5
	s_andn2_b64 vcc, exec, s[54:55]
	s_waitcnt lgkmcnt(0)
	v_mul_lo_u32 v8, v5, s56
	s_cbranch_vccnz .LBB9_7
; %bb.81:                               ;   in Loop: Header=BB9_9 Depth=1
	v_mul_hi_u32 v5, s8, v0
	v_add_u32_e32 v5, v0, v5
	v_lshrrev_b32_e32 v5, s14, v5
	v_mul_lo_u32 v5, v5, s12
	v_sub_u32_e32 v0, v0, v5
	v_mad_u64_u32 v[8:9], s[0:1], v0, s57, v[8:9]
	s_branch .LBB9_7
.LBB9_82:
	s_endpgm
.LBB9_83:
                                        ; implicit-def: $sgpr6_sgpr7
	s_andn2_b64 vcc, exec, s[4:5]
	s_cbranch_vccz .LBB9_4
	s_branch .LBB9_5
	.section	.rodata,"a",@progbits
	.p2align	6, 0x0
	.amdhsa_kernel _ZN2at6native12_GLOBAL__N_143distribution_elementwise_grid_stride_kernelIfLi4EZNS0_9templates4cuda20normal_and_transformIN3c104HalfEfPNS_17CUDAGeneratorImplEZZZNS4_17log_normal_kernelIS9_EEvRNS_18TensorIteratorBaseEddT_ENKUlvE_clEvENKUlvE1_clEvEUlfE_EEvSC_T1_T2_EUlP25hiprandStatePhilox4_32_10E_ZNS1_27distribution_nullary_kernelIS7_f15HIP_vector_typeIdLj2EES9_SL_SG_EEvSC_SI_RKT3_T4_EUlifE0_EEvlNS_15PhiloxCudaStateESH_SI_
		.amdhsa_group_segment_fixed_size 0
		.amdhsa_private_segment_fixed_size 0
		.amdhsa_kernarg_size 584
		.amdhsa_user_sgpr_count 2
		.amdhsa_user_sgpr_dispatch_ptr 0
		.amdhsa_user_sgpr_queue_ptr 0
		.amdhsa_user_sgpr_kernarg_segment_ptr 1
		.amdhsa_user_sgpr_dispatch_id 0
		.amdhsa_user_sgpr_kernarg_preload_length 0
		.amdhsa_user_sgpr_kernarg_preload_offset 0
		.amdhsa_user_sgpr_private_segment_size 0
		.amdhsa_uses_dynamic_stack 0
		.amdhsa_enable_private_segment 0
		.amdhsa_system_sgpr_workgroup_id_x 1
		.amdhsa_system_sgpr_workgroup_id_y 0
		.amdhsa_system_sgpr_workgroup_id_z 0
		.amdhsa_system_sgpr_workgroup_info 0
		.amdhsa_system_vgpr_workitem_id 0
		.amdhsa_next_free_vgpr 102
		.amdhsa_next_free_sgpr 95
		.amdhsa_accum_offset 104
		.amdhsa_reserve_vcc 1
		.amdhsa_float_round_mode_32 0
		.amdhsa_float_round_mode_16_64 0
		.amdhsa_float_denorm_mode_32 3
		.amdhsa_float_denorm_mode_16_64 3
		.amdhsa_dx10_clamp 1
		.amdhsa_ieee_mode 1
		.amdhsa_fp16_overflow 0
		.amdhsa_tg_split 0
		.amdhsa_exception_fp_ieee_invalid_op 0
		.amdhsa_exception_fp_denorm_src 0
		.amdhsa_exception_fp_ieee_div_zero 0
		.amdhsa_exception_fp_ieee_overflow 0
		.amdhsa_exception_fp_ieee_underflow 0
		.amdhsa_exception_fp_ieee_inexact 0
		.amdhsa_exception_int_div_zero 0
	.end_amdhsa_kernel
	.section	.text._ZN2at6native12_GLOBAL__N_143distribution_elementwise_grid_stride_kernelIfLi4EZNS0_9templates4cuda20normal_and_transformIN3c104HalfEfPNS_17CUDAGeneratorImplEZZZNS4_17log_normal_kernelIS9_EEvRNS_18TensorIteratorBaseEddT_ENKUlvE_clEvENKUlvE1_clEvEUlfE_EEvSC_T1_T2_EUlP25hiprandStatePhilox4_32_10E_ZNS1_27distribution_nullary_kernelIS7_f15HIP_vector_typeIdLj2EES9_SL_SG_EEvSC_SI_RKT3_T4_EUlifE0_EEvlNS_15PhiloxCudaStateESH_SI_,"axG",@progbits,_ZN2at6native12_GLOBAL__N_143distribution_elementwise_grid_stride_kernelIfLi4EZNS0_9templates4cuda20normal_and_transformIN3c104HalfEfPNS_17CUDAGeneratorImplEZZZNS4_17log_normal_kernelIS9_EEvRNS_18TensorIteratorBaseEddT_ENKUlvE_clEvENKUlvE1_clEvEUlfE_EEvSC_T1_T2_EUlP25hiprandStatePhilox4_32_10E_ZNS1_27distribution_nullary_kernelIS7_f15HIP_vector_typeIdLj2EES9_SL_SG_EEvSC_SI_RKT3_T4_EUlifE0_EEvlNS_15PhiloxCudaStateESH_SI_,comdat
.Lfunc_end9:
	.size	_ZN2at6native12_GLOBAL__N_143distribution_elementwise_grid_stride_kernelIfLi4EZNS0_9templates4cuda20normal_and_transformIN3c104HalfEfPNS_17CUDAGeneratorImplEZZZNS4_17log_normal_kernelIS9_EEvRNS_18TensorIteratorBaseEddT_ENKUlvE_clEvENKUlvE1_clEvEUlfE_EEvSC_T1_T2_EUlP25hiprandStatePhilox4_32_10E_ZNS1_27distribution_nullary_kernelIS7_f15HIP_vector_typeIdLj2EES9_SL_SG_EEvSC_SI_RKT3_T4_EUlifE0_EEvlNS_15PhiloxCudaStateESH_SI_, .Lfunc_end9-_ZN2at6native12_GLOBAL__N_143distribution_elementwise_grid_stride_kernelIfLi4EZNS0_9templates4cuda20normal_and_transformIN3c104HalfEfPNS_17CUDAGeneratorImplEZZZNS4_17log_normal_kernelIS9_EEvRNS_18TensorIteratorBaseEddT_ENKUlvE_clEvENKUlvE1_clEvEUlfE_EEvSC_T1_T2_EUlP25hiprandStatePhilox4_32_10E_ZNS1_27distribution_nullary_kernelIS7_f15HIP_vector_typeIdLj2EES9_SL_SG_EEvSC_SI_RKT3_T4_EUlifE0_EEvlNS_15PhiloxCudaStateESH_SI_
                                        ; -- End function
	.section	.AMDGPU.csdata,"",@progbits
; Kernel info:
; codeLenInByte = 6288
; NumSgprs: 101
; NumVgprs: 102
; NumAgprs: 0
; TotalNumVgprs: 102
; ScratchSize: 0
; MemoryBound: 0
; FloatMode: 240
; IeeeMode: 1
; LDSByteSize: 0 bytes/workgroup (compile time only)
; SGPRBlocks: 12
; VGPRBlocks: 12
; NumSGPRsForWavesPerEU: 101
; NumVGPRsForWavesPerEU: 102
; AccumOffset: 104
; Occupancy: 4
; WaveLimiterHint : 1
; COMPUTE_PGM_RSRC2:SCRATCH_EN: 0
; COMPUTE_PGM_RSRC2:USER_SGPR: 2
; COMPUTE_PGM_RSRC2:TRAP_HANDLER: 0
; COMPUTE_PGM_RSRC2:TGID_X_EN: 1
; COMPUTE_PGM_RSRC2:TGID_Y_EN: 0
; COMPUTE_PGM_RSRC2:TGID_Z_EN: 0
; COMPUTE_PGM_RSRC2:TIDIG_COMP_CNT: 0
; COMPUTE_PGM_RSRC3_GFX90A:ACCUM_OFFSET: 25
; COMPUTE_PGM_RSRC3_GFX90A:TG_SPLIT: 0
	.section	.text._ZN2at6native12_GLOBAL__N_143distribution_elementwise_grid_stride_kernelIfLi4EZNS0_9templates4cuda20normal_and_transformIN3c104HalfEfPNS_17CUDAGeneratorImplEZZZNS4_17log_normal_kernelIS9_EEvRNS_18TensorIteratorBaseEddT_ENKUlvE_clEvENKUlvE1_clEvEUlfE_EEvSC_T1_T2_EUlP25hiprandStatePhilox4_32_10E0_ZNS1_27distribution_nullary_kernelIS7_f15HIP_vector_typeIfLj4EES9_SL_SG_EEvSC_SI_RKT3_T4_EUlifE_EEvlNS_15PhiloxCudaStateESH_SI_,"axG",@progbits,_ZN2at6native12_GLOBAL__N_143distribution_elementwise_grid_stride_kernelIfLi4EZNS0_9templates4cuda20normal_and_transformIN3c104HalfEfPNS_17CUDAGeneratorImplEZZZNS4_17log_normal_kernelIS9_EEvRNS_18TensorIteratorBaseEddT_ENKUlvE_clEvENKUlvE1_clEvEUlfE_EEvSC_T1_T2_EUlP25hiprandStatePhilox4_32_10E0_ZNS1_27distribution_nullary_kernelIS7_f15HIP_vector_typeIfLj4EES9_SL_SG_EEvSC_SI_RKT3_T4_EUlifE_EEvlNS_15PhiloxCudaStateESH_SI_,comdat
	.globl	_ZN2at6native12_GLOBAL__N_143distribution_elementwise_grid_stride_kernelIfLi4EZNS0_9templates4cuda20normal_and_transformIN3c104HalfEfPNS_17CUDAGeneratorImplEZZZNS4_17log_normal_kernelIS9_EEvRNS_18TensorIteratorBaseEddT_ENKUlvE_clEvENKUlvE1_clEvEUlfE_EEvSC_T1_T2_EUlP25hiprandStatePhilox4_32_10E0_ZNS1_27distribution_nullary_kernelIS7_f15HIP_vector_typeIfLj4EES9_SL_SG_EEvSC_SI_RKT3_T4_EUlifE_EEvlNS_15PhiloxCudaStateESH_SI_ ; -- Begin function _ZN2at6native12_GLOBAL__N_143distribution_elementwise_grid_stride_kernelIfLi4EZNS0_9templates4cuda20normal_and_transformIN3c104HalfEfPNS_17CUDAGeneratorImplEZZZNS4_17log_normal_kernelIS9_EEvRNS_18TensorIteratorBaseEddT_ENKUlvE_clEvENKUlvE1_clEvEUlfE_EEvSC_T1_T2_EUlP25hiprandStatePhilox4_32_10E0_ZNS1_27distribution_nullary_kernelIS7_f15HIP_vector_typeIfLj4EES9_SL_SG_EEvSC_SI_RKT3_T4_EUlifE_EEvlNS_15PhiloxCudaStateESH_SI_
	.p2align	8
	.type	_ZN2at6native12_GLOBAL__N_143distribution_elementwise_grid_stride_kernelIfLi4EZNS0_9templates4cuda20normal_and_transformIN3c104HalfEfPNS_17CUDAGeneratorImplEZZZNS4_17log_normal_kernelIS9_EEvRNS_18TensorIteratorBaseEddT_ENKUlvE_clEvENKUlvE1_clEvEUlfE_EEvSC_T1_T2_EUlP25hiprandStatePhilox4_32_10E0_ZNS1_27distribution_nullary_kernelIS7_f15HIP_vector_typeIfLj4EES9_SL_SG_EEvSC_SI_RKT3_T4_EUlifE_EEvlNS_15PhiloxCudaStateESH_SI_,@function
_ZN2at6native12_GLOBAL__N_143distribution_elementwise_grid_stride_kernelIfLi4EZNS0_9templates4cuda20normal_and_transformIN3c104HalfEfPNS_17CUDAGeneratorImplEZZZNS4_17log_normal_kernelIS9_EEvRNS_18TensorIteratorBaseEddT_ENKUlvE_clEvENKUlvE1_clEvEUlfE_EEvSC_T1_T2_EUlP25hiprandStatePhilox4_32_10E0_ZNS1_27distribution_nullary_kernelIS7_f15HIP_vector_typeIfLj4EES9_SL_SG_EEvSC_SI_RKT3_T4_EUlifE_EEvlNS_15PhiloxCudaStateESH_SI_: ; @_ZN2at6native12_GLOBAL__N_143distribution_elementwise_grid_stride_kernelIfLi4EZNS0_9templates4cuda20normal_and_transformIN3c104HalfEfPNS_17CUDAGeneratorImplEZZZNS4_17log_normal_kernelIS9_EEvRNS_18TensorIteratorBaseEddT_ENKUlvE_clEvENKUlvE1_clEvEUlfE_EEvSC_T1_T2_EUlP25hiprandStatePhilox4_32_10E0_ZNS1_27distribution_nullary_kernelIS7_f15HIP_vector_typeIfLj4EES9_SL_SG_EEvSC_SI_RKT3_T4_EUlifE_EEvlNS_15PhiloxCudaStateESH_SI_
; %bb.0:
	s_load_dword s3, s[0:1], 0x20
	s_load_dwordx2 s[8:9], s[0:1], 0x10
	s_load_dwordx4 s[4:7], s[0:1], 0x0
	s_mov_b32 s13, 0
	s_waitcnt lgkmcnt(0)
	s_bitcmp0_b32 s3, 0
	v_mov_b64_e32 v[2:3], s[8:9]
	v_mov_b64_e32 v[14:15], s[6:7]
	s_cbranch_scc1 .LBB10_2
; %bb.1:
	v_mov_b64_e32 v[4:5], s[8:9]
	v_mov_b64_e32 v[2:3], s[6:7]
	flat_load_dwordx2 v[6:7], v[4:5]
	flat_load_dwordx2 v[14:15], v[2:3]
	s_load_dwordx2 s[6:7], s[0:1], 0x18
	s_waitcnt vmcnt(0) lgkmcnt(0)
	v_lshl_add_u64 v[2:3], v[6:7], 0, s[6:7]
.LBB10_2:
	s_load_dword s3, s[0:1], 0x54
	s_load_dword s22, s[0:1], 0x48
	s_mov_b32 s10, s13
	s_mov_b64 s[8:9], -1
	s_waitcnt lgkmcnt(0)
	s_and_b32 s3, s3, 0xffff
	s_add_u32 s7, s4, -1
	s_mul_i32 s6, s22, s3
	s_addc_u32 s11, s5, -1
	s_lshl_b32 s12, s6, 2
	s_cmp_lg_u64 s[10:11], 0
	s_cbranch_scc0 .LBB10_27
; %bb.3:
	v_cvt_f32_u32_e32 v1, s12
	v_cvt_f32_ubyte0_e32 v4, 0
	s_sub_u32 s10, 0, s12
	s_subb_u32 s14, 0, 0
	v_fmamk_f32 v1, v4, 0x4f800000, v1
	v_rcp_f32_e32 v1, v1
	s_nop 0
	v_mul_f32_e32 v1, 0x5f7ffffc, v1
	v_mul_f32_e32 v4, 0x2f800000, v1
	v_trunc_f32_e32 v4, v4
	v_fmamk_f32 v1, v4, 0xcf800000, v1
	v_cvt_u32_f32_e32 v4, v4
	v_cvt_u32_f32_e32 v1, v1
	v_readfirstlane_b32 s15, v4
	v_readfirstlane_b32 s16, v1
	s_mul_i32 s17, s10, s15
	s_mul_hi_u32 s19, s10, s16
	s_mul_i32 s18, s14, s16
	s_add_i32 s17, s19, s17
	s_add_i32 s17, s17, s18
	s_mul_i32 s20, s10, s16
	s_mul_hi_u32 s18, s16, s17
	s_mul_i32 s19, s16, s17
	s_mul_hi_u32 s16, s16, s20
	s_add_u32 s16, s16, s19
	s_addc_u32 s18, 0, s18
	s_mul_hi_u32 s21, s15, s20
	s_mul_i32 s20, s15, s20
	s_add_u32 s16, s16, s20
	s_mul_hi_u32 s19, s15, s17
	s_addc_u32 s16, s18, s21
	s_addc_u32 s18, s19, 0
	s_mul_i32 s17, s15, s17
	s_add_u32 s16, s16, s17
	s_addc_u32 s17, 0, s18
	v_add_co_u32_e32 v1, vcc, s16, v1
	s_cmp_lg_u64 vcc, 0
	s_addc_u32 s15, s15, s17
	v_readfirstlane_b32 s17, v1
	s_mul_i32 s16, s10, s15
	s_mul_hi_u32 s18, s10, s17
	s_add_i32 s16, s18, s16
	s_mul_i32 s14, s14, s17
	s_add_i32 s16, s16, s14
	s_mul_i32 s10, s10, s17
	s_mul_hi_u32 s18, s15, s10
	s_mul_i32 s19, s15, s10
	s_mul_i32 s21, s17, s16
	s_mul_hi_u32 s10, s17, s10
	s_mul_hi_u32 s20, s17, s16
	s_add_u32 s10, s10, s21
	s_addc_u32 s17, 0, s20
	s_add_u32 s10, s10, s19
	s_mul_hi_u32 s14, s15, s16
	s_addc_u32 s10, s17, s18
	s_addc_u32 s14, s14, 0
	s_mul_i32 s16, s15, s16
	s_add_u32 s10, s10, s16
	s_addc_u32 s14, 0, s14
	v_add_co_u32_e32 v1, vcc, s10, v1
	s_cmp_lg_u64 vcc, 0
	s_addc_u32 s16, s15, s14
	s_ashr_i32 s14, s11, 31
	s_add_u32 s10, s7, s14
	s_mov_b32 s15, s14
	s_addc_u32 s11, s11, s14
	s_xor_b64 s[10:11], s[10:11], s[14:15]
	v_readfirstlane_b32 s19, v1
	s_mul_i32 s18, s10, s16
	s_mul_hi_u32 s20, s10, s19
	s_mul_hi_u32 s17, s10, s16
	s_add_u32 s18, s20, s18
	s_addc_u32 s17, 0, s17
	s_mul_hi_u32 s21, s11, s19
	s_mul_i32 s19, s11, s19
	s_add_u32 s18, s18, s19
	s_mul_hi_u32 s20, s11, s16
	s_addc_u32 s17, s17, s21
	s_addc_u32 s18, s20, 0
	s_mul_i32 s16, s11, s16
	s_add_u32 s16, s17, s16
	s_addc_u32 s17, 0, s18
	s_add_u32 s18, s16, 1
	s_addc_u32 s19, s17, 0
	s_add_u32 s20, s16, 2
	s_mul_i32 s23, s12, s17
	s_mul_hi_u32 s24, s12, s16
	s_addc_u32 s21, s17, 0
	s_add_i32 s24, s24, s23
	s_mul_i32 s23, s12, s16
	v_mov_b32_e32 v1, s23
	v_sub_co_u32_e32 v1, vcc, s10, v1
	s_cmp_lg_u64 vcc, 0
	s_subb_u32 s10, s11, s24
	v_subrev_co_u32_e32 v4, vcc, s12, v1
	s_cmp_lg_u64 vcc, 0
	s_subb_u32 s11, s10, 0
	v_readfirstlane_b32 s23, v4
	s_cmp_ge_u32 s23, s12
	s_cselect_b32 s23, -1, 0
	s_cmp_eq_u32 s11, 0
	s_cselect_b32 s11, s23, -1
	s_cmp_lg_u32 s11, 0
	s_cselect_b32 s11, s21, s19
	v_readfirstlane_b32 s19, v1
	s_cselect_b32 s18, s20, s18
	s_cmp_ge_u32 s19, s12
	s_cselect_b32 s19, -1, 0
	s_cmp_eq_u32 s10, 0
	s_cselect_b32 s10, s19, -1
	s_cmp_lg_u32 s10, 0
	s_cselect_b32 s11, s11, s17
	s_cselect_b32 s10, s18, s16
	s_xor_b64 s[10:11], s[10:11], s[14:15]
	s_sub_u32 s10, s10, s14
	s_subb_u32 s11, s11, s14
	s_cbranch_execnz .LBB10_5
.LBB10_4:
	v_cvt_f32_u32_e32 v1, s12
	s_sub_i32 s8, 0, s12
	s_mov_b32 s11, 0
	v_rcp_iflag_f32_e32 v1, v1
	s_nop 0
	v_mul_f32_e32 v1, 0x4f7ffffe, v1
	v_cvt_u32_f32_e32 v1, v1
	s_nop 0
	v_readfirstlane_b32 s9, v1
	s_mul_i32 s8, s8, s9
	s_mul_hi_u32 s8, s9, s8
	s_add_i32 s9, s9, s8
	s_mul_hi_u32 s8, s7, s9
	s_mul_i32 s10, s8, s12
	s_sub_i32 s7, s7, s10
	s_add_i32 s9, s8, 1
	s_sub_i32 s10, s7, s12
	s_cmp_ge_u32 s7, s12
	s_cselect_b32 s8, s9, s8
	s_cselect_b32 s7, s10, s7
	s_add_i32 s9, s8, 1
	s_cmp_ge_u32 s7, s12
	s_cselect_b32 s10, s9, s8
.LBB10_5:
	v_mov_b32_e32 v1, 0
	v_mov_b32_e32 v4, s2
	v_mad_u64_u32 v[16:17], s[8:9], s3, v4, v[0:1]
	s_add_u32 s7, s10, 1
	s_addc_u32 s8, s11, 0
	s_mul_hi_u32 s9, s22, s3
	s_mul_i32 s8, s6, s8
	s_mul_hi_u32 s10, s6, s7
	s_add_i32 s8, s10, s8
	s_mul_i32 s9, s9, s7
	s_add_i32 s9, s8, s9
	s_mul_i32 s8, s6, s7
	s_lshl_b64 s[14:15], s[8:9], 2
	v_cmp_gt_i64_e32 vcc, s[14:15], v[16:17]
	s_and_saveexec_b64 s[8:9], vcc
	s_cbranch_execz .LBB10_26
; %bb.6:
	s_load_dwordx4 s[8:11], s[0:1], 0x38
	s_load_dwordx2 s[16:17], s[0:1], 0x30
	v_mov_b32_e32 v4, v15
	v_mov_b32_e32 v5, v1
	s_mov_b64 s[0:1], 0xdb3d7428
	v_lshl_add_u64 v[18:19], v[4:5], 0, s[0:1]
	s_mov_b64 s[0:1], 0x5384540f
	v_lshl_add_u64 v[20:21], v[14:15], 0, s[0:1]
	;; [unrolled: 2-line block ×7, first 2 shown]
	s_mov_b64 s[0:1], 0x9e3779b9
	v_alignbit_b32 v19, v3, v2, 2
	s_waitcnt lgkmcnt(0)
	s_mov_b32 s11, 0xd2511f53
	v_lshl_add_u64 v[32:33], v[14:15], 0, s[0:1]
	v_mad_u64_u32 v[6:7], s[0:1], v19, s11, 0
	v_xor_b32_e32 v1, v7, v15
	v_xor_b32_e32 v1, v1, v17
	s_mov_b32 s24, 0xcd9e8d57
	v_mad_u64_u32 v[8:9], s[0:1], v1, s24, 0
	v_xor_b32_e32 v1, v32, v9
	v_mad_u64_u32 v[10:11], s[0:1], v16, s24, 0
	v_and_b32_e32 v50, 3, v2
	v_xor_b32_e32 v1, v1, v10
	v_xor_b32_e32 v2, v14, v11
	v_lshrrev_b32_e32 v21, 2, v3
	v_mad_u64_u32 v[12:13], s[0:1], v1, s11, 0
	v_xor_b32_e32 v2, v2, v21
	v_xor_b32_e32 v1, v30, v13
	v_mad_u64_u32 v[2:3], s[0:1], v2, s11, 0
	v_xor_b32_e32 v1, v1, v2
	v_mad_u64_u32 v[10:11], s[0:1], v1, s24, 0
	s_mov_b64 s[0:1], 0xbb67ae85
	s_nop 0
	v_lshl_add_u64 v[34:35], v[4:5], 0, s[0:1]
	v_xor_b32_e32 v2, v34, v3
	v_xor_b32_e32 v2, v2, v6
	v_xor_b32_e32 v1, v28, v11
	v_mad_u64_u32 v[2:3], s[0:1], v2, s24, 0
	v_xor_b32_e32 v1, v1, v2
	v_mad_u64_u32 v[6:7], s[0:1], v1, s11, 0
	s_mov_b64 s[0:1], 0x3c6ef372
	s_nop 0
	v_lshl_add_u64 v[36:37], v[14:15], 0, s[0:1]
	v_xor_b32_e32 v2, v36, v3
	;; [unrolled: 9-line block ×7, first 2 shown]
	v_xor_b32_e32 v1, v1, v12
	v_mad_u64_u32 v[2:3], s[0:1], v1, s24, 0
	s_mov_b64 s[0:1], 0xf1bbcdc8
	v_add_u32_e32 v51, 0x8ff34781, v14
	v_xor_b32_e32 v1, v9, v2
	v_lshl_add_u64 v[48:49], v[14:15], 0, s[0:1]
	v_xor_b32_e32 v2, v51, v1
	v_xor_b32_e32 v1, v48, v3
	;; [unrolled: 1-line block ×3, first 2 shown]
	v_mad_u64_u32 v[10:11], s[0:1], v1, s11, 0
	v_add_u32_e32 v52, 0x96a522ad, v15
	v_xor_b32_e32 v1, v11, v6
	s_mul_i32 s0, s2, s3
	v_xor_b32_e32 v4, v52, v1
	v_add_u32_e32 v1, s0, v0
	s_mul_i32 s0, s22, s8
	s_mul_i32 s0, s0, s3
	s_lshl_b32 s25, s0, 2
	s_mul_i32 s0, s22, 3
	s_add_i32 s0, s2, s0
	s_mul_i32 s0, s0, s3
	v_mul_lo_u32 v23, s8, v1
	v_add_u32_e32 v1, s0, v0
	s_lshl_b32 s0, s22, 1
	s_add_i32 s0, s2, s0
	s_mul_i32 s0, s0, s3
	v_mul_lo_u32 v25, s8, v1
	v_add_u32_e32 v1, s0, v0
	s_add_i32 s0, s2, s22
	s_mul_i32 s0, s0, s3
	s_mov_b32 s7, 0
	v_add_u32_e32 v0, s0, v0
	v_mov_b32_e32 v3, v8
	v_mov_b32_e32 v5, v10
	s_lshl_b32 s18, s6, 1
	s_mov_b32 s19, s7
	s_mul_i32 s20, s6, 3
	s_mov_b32 s21, s7
	v_mul_lo_u32 v27, s8, v1
	v_mul_lo_u32 v29, s8, v0
	s_mov_b64 s[2:3], 0
	v_mov_b32_e32 v31, 0x2f800000
	v_mov_b32_e32 v33, 0x30c90fdb
	s_mov_b32 s8, 0x800000
	s_mov_b32 s26, 0x3f317217
	;; [unrolled: 1-line block ×4, first 2 shown]
	v_mov_b32_e32 v35, 0x260
	s_mov_b32 s29, 0x3fb8aa3b
	s_mov_b32 s30, 0xc2ce8ed0
	;; [unrolled: 1-line block ×3, first 2 shown]
	v_mov_b32_e32 v37, 0x4f800000
	v_mov_b32_e32 v39, 0x41b17218
	;; [unrolled: 1-line block ×3, first 2 shown]
	s_mov_b32 s33, s7
	v_mov_b32_e32 v43, v16
	v_mov_b32_e32 v45, v17
	s_branch .LBB10_8
.LBB10_7:                               ;   in Loop: Header=BB10_8 Depth=1
	s_or_b64 exec, exec, s[0:1]
	v_lshl_add_u64 v[16:17], v[16:17], 0, s[12:13]
	v_mov_b32_e32 v9, v0
	s_add_i32 s33, s33, s25
	v_cmp_le_i64_e32 vcc, s[14:15], v[16:17]
	v_mov_b64_e32 v[2:3], v[6:7]
	s_or_b64 s[2:3], vcc, s[2:3]
	v_mov_b64_e32 v[4:5], v[8:9]
	s_barrier
	s_andn2_b64 exec, exec, s[2:3]
	s_cbranch_execz .LBB10_26
.LBB10_8:                               ; =>This Inner Loop Header: Depth=1
	v_add_co_u32_e32 v19, vcc, 1, v19
	s_nop 1
	v_cndmask_b32_e64 v0, 0, 1, vcc
	v_addc_co_u32_e32 v21, vcc, 0, v21, vcc
	v_cmp_eq_u32_e32 vcc, 0, v21
	s_nop 1
	v_cndmask_b32_e32 v0, 0, v0, vcc
	v_add_u32_e32 v43, v0, v43
	v_cmp_eq_u32_e32 vcc, 0, v43
	v_mad_u64_u32 v[6:7], s[0:1], v43, s24, 0
	s_nop 0
	v_cndmask_b32_e32 v0, 0, v0, vcc
	v_add_u32_e32 v45, v0, v45
	v_mad_u64_u32 v[0:1], s[0:1], v19, s11, 0
	v_xor_b32_e32 v1, v1, v15
	v_xor_b32_e32 v7, v7, v14
	v_xor_b32_e32 v1, v45, v1
	v_xor_b32_e32 v7, v21, v7
	v_mad_u64_u32 v[10:11], s[0:1], v1, s24, 0
	v_mad_u64_u32 v[8:9], s[0:1], v7, s11, 0
	v_xor_b32_e32 v1, v32, v11
	v_xor_b32_e32 v1, v1, v6
	v_xor_b32_e32 v6, v34, v9
	v_xor_b32_e32 v6, v6, v0
	v_mad_u64_u32 v[0:1], s[0:1], v1, s11, 0
	;; [unrolled: 6-line block ×9, first 2 shown]
	v_mad_u64_u32 v[12:13], s[0:1], v7, s24, 0
	v_xor_b32_e32 v1, v1, v54
	v_xor_b32_e32 v6, v13, v6
	;; [unrolled: 1-line block ×4, first 2 shown]
	v_mov_b32_e32 v7, v12
	v_mov_b32_e32 v8, v13
	v_cmp_lt_i32_e32 vcc, 1, v50
	s_and_saveexec_b64 s[0:1], vcc
	s_xor_b64 s[0:1], exec, s[0:1]
	s_cbranch_execz .LBB10_14
; %bb.9:                                ;   in Loop: Header=BB10_8 Depth=1
	v_cmp_lt_i32_e32 vcc, 2, v50
	s_and_saveexec_b64 s[22:23], vcc
	s_xor_b64 s[22:23], exec, s[22:23]
; %bb.10:                               ;   in Loop: Header=BB10_8 Depth=1
	v_mov_b32_e32 v10, v5
	v_mov_b32_e32 v11, v6
	v_mov_b64_e32 v[2:3], v[10:11]
	v_mov_b64_e32 v[4:5], v[12:13]
                                        ; implicit-def: $vgpr12_vgpr13
; %bb.11:                               ;   in Loop: Header=BB10_8 Depth=1
	s_andn2_saveexec_b64 s[22:23], s[22:23]
; %bb.12:                               ;   in Loop: Header=BB10_8 Depth=1
	v_mov_b32_e32 v2, v4
	v_mov_b32_e32 v3, v5
	;; [unrolled: 1-line block ×4, first 2 shown]
; %bb.13:                               ;   in Loop: Header=BB10_8 Depth=1
	s_or_b64 exec, exec, s[22:23]
.LBB10_14:                              ;   in Loop: Header=BB10_8 Depth=1
	s_andn2_saveexec_b64 s[0:1], s[0:1]
	s_cbranch_execz .LBB10_18
; %bb.15:                               ;   in Loop: Header=BB10_8 Depth=1
	v_cmp_eq_u32_e32 vcc, 1, v50
	s_and_saveexec_b64 s[22:23], vcc
; %bb.16:                               ;   in Loop: Header=BB10_8 Depth=1
	v_mov_b32_e32 v2, v3
	v_mov_b32_e32 v3, v4
	;; [unrolled: 1-line block ×4, first 2 shown]
; %bb.17:                               ;   in Loop: Header=BB10_8 Depth=1
	s_or_b64 exec, exec, s[22:23]
.LBB10_18:                              ;   in Loop: Header=BB10_8 Depth=1
	s_or_b64 exec, exec, s[0:1]
	v_cvt_f32_u32_e32 v1, v2
	v_fmamk_f32 v1, v1, 0x2f800000, v31
	v_cmp_gt_f32_e32 vcc, s8, v1
	s_nop 1
	v_cndmask_b32_e32 v2, 1.0, v37, vcc
	v_mul_f32_e32 v1, v1, v2
	v_log_f32_e32 v1, v1
	v_cvt_f32_u32_e32 v2, v3
	v_cndmask_b32_e32 v3, 0, v39, vcc
	v_mul_f32_e32 v9, 0x3f317217, v1
	v_fma_f32 v10, v1, s26, -v9
	v_fmac_f32_e32 v10, 0x3377d1cf, v1
	v_add_f32_e32 v9, v9, v10
	v_cmp_lt_f32_e64 vcc, |v1|, s27
	v_fmamk_f32 v2, v2, 0x30c90fdb, v33
	v_mul_f32_e32 v2, 0.15915494, v2
	v_cndmask_b32_e32 v1, v1, v9, vcc
	v_sub_f32_e32 v1, v1, v3
	v_mul_f32_e32 v1, -2.0, v1
	v_mul_f32_e32 v3, 0x4f800000, v1
	v_cmp_gt_f32_e32 vcc, s28, v1
	s_nop 1
	v_cndmask_b32_e32 v1, v1, v3, vcc
	v_sqrt_f32_e32 v3, v1
	s_nop 0
	v_add_u32_e32 v9, -1, v3
	v_add_u32_e32 v10, 1, v3
	v_fma_f32 v11, -v9, v3, v1
	v_fma_f32 v12, -v10, v3, v1
	v_cmp_ge_f32_e64 s[0:1], 0, v11
	s_nop 1
	v_cndmask_b32_e64 v3, v3, v9, s[0:1]
	v_cmp_lt_f32_e64 s[0:1], 0, v12
	s_nop 1
	v_cndmask_b32_e64 v3, v3, v10, s[0:1]
	v_mul_f32_e32 v9, 0x37800000, v3
	v_cndmask_b32_e32 v3, v3, v9, vcc
	v_cmp_class_f32_e32 vcc, v1, v35
	s_nop 1
	v_cndmask_b32_e32 v1, v3, v1, vcc
	v_cmp_gt_i64_e32 vcc, s[4:5], v[16:17]
	s_and_saveexec_b64 s[0:1], vcc
	s_cbranch_execz .LBB10_20
; %bb.19:                               ;   in Loop: Header=BB10_8 Depth=1
	v_sin_f32_e32 v3, v2
	v_mov_b32_e32 v9, s9
	v_mul_f32_e32 v3, v3, v1
	v_fma_f32 v3, s10, v3, v9
	v_mul_f32_e32 v9, 0x3fb8aa3b, v3
	v_fma_f32 v10, v3, s29, -v9
	v_rndne_f32_e32 v11, v9
	v_fmac_f32_e32 v10, 0x32a5705f, v3
	v_sub_f32_e32 v9, v9, v11
	v_add_f32_e32 v9, v9, v10
	v_cvt_i32_f32_e32 v10, v11
	v_exp_f32_e32 v9, v9
	v_cmp_ngt_f32_e32 vcc, s30, v3
	v_ldexp_f32 v9, v9, v10
	s_nop 0
	v_cndmask_b32_e32 v9, 0, v9, vcc
	v_cmp_nlt_f32_e32 vcc, s31, v3
	v_add_u32_e32 v10, s33, v23
	v_ashrrev_i32_e32 v11, 31, v10
	v_cndmask_b32_e32 v3, v41, v9, vcc
	v_cvt_f16_f32_e32 v3, v3
	v_lshl_add_u64 v[10:11], s[16:17], 0, v[10:11]
	global_store_short v[10:11], v3, off
.LBB10_20:                              ;   in Loop: Header=BB10_8 Depth=1
	s_or_b64 exec, exec, s[0:1]
	v_lshl_add_u64 v[10:11], s[6:7], 0, v[16:17]
	v_cmp_gt_i64_e32 vcc, s[4:5], v[10:11]
	s_and_saveexec_b64 s[0:1], vcc
	s_cbranch_execz .LBB10_22
; %bb.21:                               ;   in Loop: Header=BB10_8 Depth=1
	v_cos_f32_e32 v2, v2
	v_mov_b32_e32 v3, s9
	v_mul_f32_e32 v1, v2, v1
	v_fma_f32 v1, s10, v1, v3
	v_mul_f32_e32 v2, 0x3fb8aa3b, v1
	v_fma_f32 v3, v1, s29, -v2
	v_rndne_f32_e32 v9, v2
	v_fmac_f32_e32 v3, 0x32a5705f, v1
	v_sub_f32_e32 v2, v2, v9
	v_add_f32_e32 v2, v2, v3
	v_cvt_i32_f32_e32 v3, v9
	v_exp_f32_e32 v2, v2
	v_cmp_ngt_f32_e32 vcc, s30, v1
	v_ldexp_f32 v2, v2, v3
	s_nop 0
	v_cndmask_b32_e32 v2, 0, v2, vcc
	v_cmp_nlt_f32_e32 vcc, s31, v1
	s_nop 1
	v_cndmask_b32_e32 v1, v41, v2, vcc
	v_cvt_f16_f32_e32 v1, v1
	v_add_u32_e32 v2, s33, v29
	v_ashrrev_i32_e32 v3, 31, v2
	v_lshl_add_u64 v[2:3], s[16:17], 0, v[2:3]
	global_store_short v[2:3], v1, off
.LBB10_22:                              ;   in Loop: Header=BB10_8 Depth=1
	s_or_b64 exec, exec, s[0:1]
	v_cvt_f32_u32_e32 v1, v4
	v_fmamk_f32 v1, v1, 0x2f800000, v31
	v_cmp_gt_f32_e32 vcc, s8, v1
	s_nop 1
	v_cndmask_b32_e32 v2, 1.0, v37, vcc
	v_mul_f32_e32 v1, v1, v2
	v_log_f32_e32 v1, v1
	v_cvt_f32_u32_e32 v2, v5
	v_cndmask_b32_e32 v3, 0, v39, vcc
	v_mul_f32_e32 v4, 0x3f317217, v1
	v_fma_f32 v5, v1, s26, -v4
	v_fmac_f32_e32 v5, 0x3377d1cf, v1
	v_add_f32_e32 v4, v4, v5
	v_cmp_lt_f32_e64 vcc, |v1|, s27
	s_nop 1
	v_cndmask_b32_e32 v1, v1, v4, vcc
	v_sub_f32_e32 v1, v1, v3
	v_mul_f32_e32 v1, -2.0, v1
	v_mul_f32_e32 v3, 0x4f800000, v1
	v_cmp_gt_f32_e32 vcc, s28, v1
	v_fmamk_f32 v4, v2, 0x30c90fdb, v33
	s_nop 0
	v_cndmask_b32_e32 v1, v1, v3, vcc
	v_sqrt_f32_e32 v3, v1
	s_nop 0
	v_add_u32_e32 v2, -1, v3
	v_add_u32_e32 v5, 1, v3
	v_fma_f32 v9, -v2, v3, v1
	v_fma_f32 v10, -v5, v3, v1
	v_cmp_ge_f32_e64 s[0:1], 0, v9
	s_nop 1
	v_cndmask_b32_e64 v2, v3, v2, s[0:1]
	v_cmp_lt_f32_e64 s[0:1], 0, v10
	s_nop 1
	v_cndmask_b32_e64 v2, v2, v5, s[0:1]
	v_mul_f32_e32 v3, 0x37800000, v2
	v_cndmask_b32_e32 v2, v2, v3, vcc
	v_cmp_class_f32_e32 vcc, v1, v35
	s_nop 1
	v_cndmask_b32_e32 v1, v2, v1, vcc
	v_lshl_add_u64 v[2:3], s[18:19], 0, v[16:17]
	v_cmp_gt_i64_e32 vcc, s[4:5], v[2:3]
	v_mul_f32_e32 v2, 0.15915494, v4
	s_and_saveexec_b64 s[0:1], vcc
	s_cbranch_execz .LBB10_24
; %bb.23:                               ;   in Loop: Header=BB10_8 Depth=1
	v_sin_f32_e32 v3, v2
	v_mov_b32_e32 v4, s9
	v_mul_f32_e32 v3, v3, v1
	v_fma_f32 v3, s10, v3, v4
	v_mul_f32_e32 v4, 0x3fb8aa3b, v3
	v_fma_f32 v5, v3, s29, -v4
	v_rndne_f32_e32 v9, v4
	v_fmac_f32_e32 v5, 0x32a5705f, v3
	v_sub_f32_e32 v4, v4, v9
	v_add_f32_e32 v4, v4, v5
	v_cvt_i32_f32_e32 v5, v9
	v_exp_f32_e32 v4, v4
	v_cmp_ngt_f32_e32 vcc, s30, v3
	v_ldexp_f32 v4, v4, v5
	s_nop 0
	v_cndmask_b32_e32 v4, 0, v4, vcc
	v_cmp_nlt_f32_e32 vcc, s31, v3
	s_nop 1
	v_cndmask_b32_e32 v3, v41, v4, vcc
	v_cvt_f16_f32_e32 v3, v3
	v_add_u32_e32 v4, s33, v27
	v_ashrrev_i32_e32 v5, 31, v4
	v_lshl_add_u64 v[4:5], s[16:17], 0, v[4:5]
	global_store_short v[4:5], v3, off
.LBB10_24:                              ;   in Loop: Header=BB10_8 Depth=1
	s_or_b64 exec, exec, s[0:1]
	v_lshl_add_u64 v[4:5], s[20:21], 0, v[16:17]
	v_cmp_gt_i64_e32 vcc, s[4:5], v[4:5]
	s_and_saveexec_b64 s[0:1], vcc
	s_cbranch_execz .LBB10_7
; %bb.25:                               ;   in Loop: Header=BB10_8 Depth=1
	v_cos_f32_e32 v2, v2
	v_mov_b32_e32 v3, s9
	v_mul_f32_e32 v1, v2, v1
	v_fma_f32 v1, s10, v1, v3
	v_mul_f32_e32 v2, 0x3fb8aa3b, v1
	v_fma_f32 v3, v1, s29, -v2
	v_rndne_f32_e32 v4, v2
	v_fmac_f32_e32 v3, 0x32a5705f, v1
	v_sub_f32_e32 v2, v2, v4
	v_add_f32_e32 v2, v2, v3
	v_cvt_i32_f32_e32 v3, v4
	v_exp_f32_e32 v2, v2
	v_cmp_ngt_f32_e32 vcc, s30, v1
	v_ldexp_f32 v2, v2, v3
	s_nop 0
	v_cndmask_b32_e32 v2, 0, v2, vcc
	v_cmp_nlt_f32_e32 vcc, s31, v1
	s_nop 1
	v_cndmask_b32_e32 v1, v41, v2, vcc
	v_cvt_f16_f32_e32 v1, v1
	v_add_u32_e32 v2, s33, v25
	v_ashrrev_i32_e32 v3, 31, v2
	v_lshl_add_u64 v[2:3], s[16:17], 0, v[2:3]
	global_store_short v[2:3], v1, off
	s_branch .LBB10_7
.LBB10_26:
	s_endpgm
.LBB10_27:
                                        ; implicit-def: $sgpr10_sgpr11
	s_andn2_b64 vcc, exec, s[8:9]
	s_cbranch_vccz .LBB10_4
	s_branch .LBB10_5
	.section	.rodata,"a",@progbits
	.p2align	6, 0x0
	.amdhsa_kernel _ZN2at6native12_GLOBAL__N_143distribution_elementwise_grid_stride_kernelIfLi4EZNS0_9templates4cuda20normal_and_transformIN3c104HalfEfPNS_17CUDAGeneratorImplEZZZNS4_17log_normal_kernelIS9_EEvRNS_18TensorIteratorBaseEddT_ENKUlvE_clEvENKUlvE1_clEvEUlfE_EEvSC_T1_T2_EUlP25hiprandStatePhilox4_32_10E0_ZNS1_27distribution_nullary_kernelIS7_f15HIP_vector_typeIfLj4EES9_SL_SG_EEvSC_SI_RKT3_T4_EUlifE_EEvlNS_15PhiloxCudaStateESH_SI_
		.amdhsa_group_segment_fixed_size 0
		.amdhsa_private_segment_fixed_size 0
		.amdhsa_kernarg_size 328
		.amdhsa_user_sgpr_count 2
		.amdhsa_user_sgpr_dispatch_ptr 0
		.amdhsa_user_sgpr_queue_ptr 0
		.amdhsa_user_sgpr_kernarg_segment_ptr 1
		.amdhsa_user_sgpr_dispatch_id 0
		.amdhsa_user_sgpr_kernarg_preload_length 0
		.amdhsa_user_sgpr_kernarg_preload_offset 0
		.amdhsa_user_sgpr_private_segment_size 0
		.amdhsa_uses_dynamic_stack 0
		.amdhsa_enable_private_segment 0
		.amdhsa_system_sgpr_workgroup_id_x 1
		.amdhsa_system_sgpr_workgroup_id_y 0
		.amdhsa_system_sgpr_workgroup_id_z 0
		.amdhsa_system_sgpr_workgroup_info 0
		.amdhsa_system_vgpr_workitem_id 0
		.amdhsa_next_free_vgpr 56
		.amdhsa_next_free_sgpr 34
		.amdhsa_accum_offset 56
		.amdhsa_reserve_vcc 1
		.amdhsa_float_round_mode_32 0
		.amdhsa_float_round_mode_16_64 0
		.amdhsa_float_denorm_mode_32 3
		.amdhsa_float_denorm_mode_16_64 3
		.amdhsa_dx10_clamp 1
		.amdhsa_ieee_mode 1
		.amdhsa_fp16_overflow 0
		.amdhsa_tg_split 0
		.amdhsa_exception_fp_ieee_invalid_op 0
		.amdhsa_exception_fp_denorm_src 0
		.amdhsa_exception_fp_ieee_div_zero 0
		.amdhsa_exception_fp_ieee_overflow 0
		.amdhsa_exception_fp_ieee_underflow 0
		.amdhsa_exception_fp_ieee_inexact 0
		.amdhsa_exception_int_div_zero 0
	.end_amdhsa_kernel
	.section	.text._ZN2at6native12_GLOBAL__N_143distribution_elementwise_grid_stride_kernelIfLi4EZNS0_9templates4cuda20normal_and_transformIN3c104HalfEfPNS_17CUDAGeneratorImplEZZZNS4_17log_normal_kernelIS9_EEvRNS_18TensorIteratorBaseEddT_ENKUlvE_clEvENKUlvE1_clEvEUlfE_EEvSC_T1_T2_EUlP25hiprandStatePhilox4_32_10E0_ZNS1_27distribution_nullary_kernelIS7_f15HIP_vector_typeIfLj4EES9_SL_SG_EEvSC_SI_RKT3_T4_EUlifE_EEvlNS_15PhiloxCudaStateESH_SI_,"axG",@progbits,_ZN2at6native12_GLOBAL__N_143distribution_elementwise_grid_stride_kernelIfLi4EZNS0_9templates4cuda20normal_and_transformIN3c104HalfEfPNS_17CUDAGeneratorImplEZZZNS4_17log_normal_kernelIS9_EEvRNS_18TensorIteratorBaseEddT_ENKUlvE_clEvENKUlvE1_clEvEUlfE_EEvSC_T1_T2_EUlP25hiprandStatePhilox4_32_10E0_ZNS1_27distribution_nullary_kernelIS7_f15HIP_vector_typeIfLj4EES9_SL_SG_EEvSC_SI_RKT3_T4_EUlifE_EEvlNS_15PhiloxCudaStateESH_SI_,comdat
.Lfunc_end10:
	.size	_ZN2at6native12_GLOBAL__N_143distribution_elementwise_grid_stride_kernelIfLi4EZNS0_9templates4cuda20normal_and_transformIN3c104HalfEfPNS_17CUDAGeneratorImplEZZZNS4_17log_normal_kernelIS9_EEvRNS_18TensorIteratorBaseEddT_ENKUlvE_clEvENKUlvE1_clEvEUlfE_EEvSC_T1_T2_EUlP25hiprandStatePhilox4_32_10E0_ZNS1_27distribution_nullary_kernelIS7_f15HIP_vector_typeIfLj4EES9_SL_SG_EEvSC_SI_RKT3_T4_EUlifE_EEvlNS_15PhiloxCudaStateESH_SI_, .Lfunc_end10-_ZN2at6native12_GLOBAL__N_143distribution_elementwise_grid_stride_kernelIfLi4EZNS0_9templates4cuda20normal_and_transformIN3c104HalfEfPNS_17CUDAGeneratorImplEZZZNS4_17log_normal_kernelIS9_EEvRNS_18TensorIteratorBaseEddT_ENKUlvE_clEvENKUlvE1_clEvEUlfE_EEvSC_T1_T2_EUlP25hiprandStatePhilox4_32_10E0_ZNS1_27distribution_nullary_kernelIS7_f15HIP_vector_typeIfLj4EES9_SL_SG_EEvSC_SI_RKT3_T4_EUlifE_EEvlNS_15PhiloxCudaStateESH_SI_
                                        ; -- End function
	.section	.AMDGPU.csdata,"",@progbits
; Kernel info:
; codeLenInByte = 3296
; NumSgprs: 40
; NumVgprs: 56
; NumAgprs: 0
; TotalNumVgprs: 56
; ScratchSize: 0
; MemoryBound: 0
; FloatMode: 240
; IeeeMode: 1
; LDSByteSize: 0 bytes/workgroup (compile time only)
; SGPRBlocks: 4
; VGPRBlocks: 6
; NumSGPRsForWavesPerEU: 40
; NumVGPRsForWavesPerEU: 56
; AccumOffset: 56
; Occupancy: 8
; WaveLimiterHint : 0
; COMPUTE_PGM_RSRC2:SCRATCH_EN: 0
; COMPUTE_PGM_RSRC2:USER_SGPR: 2
; COMPUTE_PGM_RSRC2:TRAP_HANDLER: 0
; COMPUTE_PGM_RSRC2:TGID_X_EN: 1
; COMPUTE_PGM_RSRC2:TGID_Y_EN: 0
; COMPUTE_PGM_RSRC2:TGID_Z_EN: 0
; COMPUTE_PGM_RSRC2:TIDIG_COMP_CNT: 0
; COMPUTE_PGM_RSRC3_GFX90A:ACCUM_OFFSET: 13
; COMPUTE_PGM_RSRC3_GFX90A:TG_SPLIT: 0
	.section	.text._ZN2at6native12_GLOBAL__N_143distribution_elementwise_grid_stride_kernelIfLi4EZNS0_9templates4cuda20normal_and_transformIN3c104HalfEfPNS_17CUDAGeneratorImplEZZZNS4_17log_normal_kernelIS9_EEvRNS_18TensorIteratorBaseEddT_ENKUlvE_clEvENKUlvE1_clEvEUlfE_EEvSC_T1_T2_EUlP25hiprandStatePhilox4_32_10E0_ZNS1_27distribution_nullary_kernelIS7_f15HIP_vector_typeIfLj4EES9_SL_SG_EEvSC_SI_RKT3_T4_EUlifE0_EEvlNS_15PhiloxCudaStateESH_SI_,"axG",@progbits,_ZN2at6native12_GLOBAL__N_143distribution_elementwise_grid_stride_kernelIfLi4EZNS0_9templates4cuda20normal_and_transformIN3c104HalfEfPNS_17CUDAGeneratorImplEZZZNS4_17log_normal_kernelIS9_EEvRNS_18TensorIteratorBaseEddT_ENKUlvE_clEvENKUlvE1_clEvEUlfE_EEvSC_T1_T2_EUlP25hiprandStatePhilox4_32_10E0_ZNS1_27distribution_nullary_kernelIS7_f15HIP_vector_typeIfLj4EES9_SL_SG_EEvSC_SI_RKT3_T4_EUlifE0_EEvlNS_15PhiloxCudaStateESH_SI_,comdat
	.globl	_ZN2at6native12_GLOBAL__N_143distribution_elementwise_grid_stride_kernelIfLi4EZNS0_9templates4cuda20normal_and_transformIN3c104HalfEfPNS_17CUDAGeneratorImplEZZZNS4_17log_normal_kernelIS9_EEvRNS_18TensorIteratorBaseEddT_ENKUlvE_clEvENKUlvE1_clEvEUlfE_EEvSC_T1_T2_EUlP25hiprandStatePhilox4_32_10E0_ZNS1_27distribution_nullary_kernelIS7_f15HIP_vector_typeIfLj4EES9_SL_SG_EEvSC_SI_RKT3_T4_EUlifE0_EEvlNS_15PhiloxCudaStateESH_SI_ ; -- Begin function _ZN2at6native12_GLOBAL__N_143distribution_elementwise_grid_stride_kernelIfLi4EZNS0_9templates4cuda20normal_and_transformIN3c104HalfEfPNS_17CUDAGeneratorImplEZZZNS4_17log_normal_kernelIS9_EEvRNS_18TensorIteratorBaseEddT_ENKUlvE_clEvENKUlvE1_clEvEUlfE_EEvSC_T1_T2_EUlP25hiprandStatePhilox4_32_10E0_ZNS1_27distribution_nullary_kernelIS7_f15HIP_vector_typeIfLj4EES9_SL_SG_EEvSC_SI_RKT3_T4_EUlifE0_EEvlNS_15PhiloxCudaStateESH_SI_
	.p2align	8
	.type	_ZN2at6native12_GLOBAL__N_143distribution_elementwise_grid_stride_kernelIfLi4EZNS0_9templates4cuda20normal_and_transformIN3c104HalfEfPNS_17CUDAGeneratorImplEZZZNS4_17log_normal_kernelIS9_EEvRNS_18TensorIteratorBaseEddT_ENKUlvE_clEvENKUlvE1_clEvEUlfE_EEvSC_T1_T2_EUlP25hiprandStatePhilox4_32_10E0_ZNS1_27distribution_nullary_kernelIS7_f15HIP_vector_typeIfLj4EES9_SL_SG_EEvSC_SI_RKT3_T4_EUlifE0_EEvlNS_15PhiloxCudaStateESH_SI_,@function
_ZN2at6native12_GLOBAL__N_143distribution_elementwise_grid_stride_kernelIfLi4EZNS0_9templates4cuda20normal_and_transformIN3c104HalfEfPNS_17CUDAGeneratorImplEZZZNS4_17log_normal_kernelIS9_EEvRNS_18TensorIteratorBaseEddT_ENKUlvE_clEvENKUlvE1_clEvEUlfE_EEvSC_T1_T2_EUlP25hiprandStatePhilox4_32_10E0_ZNS1_27distribution_nullary_kernelIS7_f15HIP_vector_typeIfLj4EES9_SL_SG_EEvSC_SI_RKT3_T4_EUlifE0_EEvlNS_15PhiloxCudaStateESH_SI_: ; @_ZN2at6native12_GLOBAL__N_143distribution_elementwise_grid_stride_kernelIfLi4EZNS0_9templates4cuda20normal_and_transformIN3c104HalfEfPNS_17CUDAGeneratorImplEZZZNS4_17log_normal_kernelIS9_EEvRNS_18TensorIteratorBaseEddT_ENKUlvE_clEvENKUlvE1_clEvEUlfE_EEvSC_T1_T2_EUlP25hiprandStatePhilox4_32_10E0_ZNS1_27distribution_nullary_kernelIS7_f15HIP_vector_typeIfLj4EES9_SL_SG_EEvSC_SI_RKT3_T4_EUlifE0_EEvlNS_15PhiloxCudaStateESH_SI_
; %bb.0:
	s_load_dword s3, s[0:1], 0x20
	s_load_dwordx2 s[4:5], s[0:1], 0x10
	s_load_dwordx4 s[20:23], s[0:1], 0x0
	s_mov_b32 s35, 0
	s_waitcnt lgkmcnt(0)
	s_bitcmp0_b32 s3, 0
	v_mov_b64_e32 v[2:3], s[4:5]
	v_mov_b64_e32 v[10:11], s[22:23]
	s_cbranch_scc1 .LBB11_2
; %bb.1:
	v_mov_b64_e32 v[4:5], s[4:5]
	v_mov_b64_e32 v[2:3], s[22:23]
	flat_load_dwordx2 v[6:7], v[4:5]
	flat_load_dwordx2 v[10:11], v[2:3]
	s_load_dwordx2 s[4:5], s[0:1], 0x18
	s_waitcnt vmcnt(0) lgkmcnt(0)
	v_lshl_add_u64 v[2:3], v[6:7], 0, s[4:5]
.LBB11_2:
	s_load_dword s4, s[0:1], 0x154
	s_load_dword s3, s[0:1], 0x148
	s_mov_b32 s6, s35
	s_waitcnt lgkmcnt(0)
	s_and_b32 s8, s4, 0xffff
	s_add_u32 s9, s20, -1
	s_mul_i32 s22, s3, s8
	s_addc_u32 s7, s21, -1
	s_lshl_b32 s34, s22, 2
	s_cmp_lg_u64 s[6:7], 0
	s_mov_b64 s[4:5], -1
	s_cbranch_scc0 .LBB11_83
; %bb.3:
	v_cvt_f32_u32_e32 v1, s34
	v_cvt_f32_ubyte0_e32 v4, 0
	s_sub_u32 s6, 0, s34
	s_subb_u32 s10, 0, 0
	v_fmamk_f32 v1, v4, 0x4f800000, v1
	v_rcp_f32_e32 v1, v1
	s_nop 0
	v_mul_f32_e32 v1, 0x5f7ffffc, v1
	v_mul_f32_e32 v4, 0x2f800000, v1
	v_trunc_f32_e32 v4, v4
	v_fmamk_f32 v1, v4, 0xcf800000, v1
	v_cvt_u32_f32_e32 v4, v4
	v_cvt_u32_f32_e32 v1, v1
	v_readfirstlane_b32 s11, v4
	v_readfirstlane_b32 s12, v1
	s_mul_i32 s13, s6, s11
	s_mul_hi_u32 s15, s6, s12
	s_mul_i32 s14, s10, s12
	s_add_i32 s13, s15, s13
	s_add_i32 s13, s13, s14
	s_mul_i32 s16, s6, s12
	s_mul_hi_u32 s14, s12, s13
	s_mul_i32 s15, s12, s13
	s_mul_hi_u32 s12, s12, s16
	s_add_u32 s12, s12, s15
	s_addc_u32 s14, 0, s14
	s_mul_hi_u32 s17, s11, s16
	s_mul_i32 s16, s11, s16
	s_add_u32 s12, s12, s16
	s_mul_hi_u32 s15, s11, s13
	s_addc_u32 s12, s14, s17
	s_addc_u32 s14, s15, 0
	s_mul_i32 s13, s11, s13
	s_add_u32 s12, s12, s13
	s_addc_u32 s13, 0, s14
	v_add_co_u32_e32 v1, vcc, s12, v1
	s_cmp_lg_u64 vcc, 0
	s_addc_u32 s11, s11, s13
	v_readfirstlane_b32 s13, v1
	s_mul_i32 s12, s6, s11
	s_mul_hi_u32 s14, s6, s13
	s_add_i32 s12, s14, s12
	s_mul_i32 s10, s10, s13
	s_add_i32 s12, s12, s10
	s_mul_i32 s6, s6, s13
	s_mul_hi_u32 s14, s11, s6
	s_mul_i32 s15, s11, s6
	s_mul_i32 s17, s13, s12
	s_mul_hi_u32 s6, s13, s6
	s_mul_hi_u32 s16, s13, s12
	s_add_u32 s6, s6, s17
	s_addc_u32 s13, 0, s16
	s_add_u32 s6, s6, s15
	s_mul_hi_u32 s10, s11, s12
	s_addc_u32 s6, s13, s14
	s_addc_u32 s10, s10, 0
	s_mul_i32 s12, s11, s12
	s_add_u32 s6, s6, s12
	s_addc_u32 s10, 0, s10
	v_add_co_u32_e32 v1, vcc, s6, v1
	s_cmp_lg_u64 vcc, 0
	s_addc_u32 s12, s11, s10
	s_ashr_i32 s10, s7, 31
	s_add_u32 s6, s9, s10
	s_mov_b32 s11, s10
	s_addc_u32 s7, s7, s10
	s_xor_b64 s[6:7], s[6:7], s[10:11]
	v_readfirstlane_b32 s15, v1
	s_mul_i32 s14, s6, s12
	s_mul_hi_u32 s16, s6, s15
	s_mul_hi_u32 s13, s6, s12
	s_add_u32 s14, s16, s14
	s_addc_u32 s13, 0, s13
	s_mul_hi_u32 s17, s7, s15
	s_mul_i32 s15, s7, s15
	s_add_u32 s14, s14, s15
	s_mul_hi_u32 s16, s7, s12
	s_addc_u32 s13, s13, s17
	s_addc_u32 s14, s16, 0
	s_mul_i32 s12, s7, s12
	s_add_u32 s12, s13, s12
	s_addc_u32 s13, 0, s14
	s_add_u32 s14, s12, 1
	s_addc_u32 s15, s13, 0
	s_add_u32 s16, s12, 2
	s_mul_i32 s18, s34, s13
	s_mul_hi_u32 s19, s34, s12
	s_addc_u32 s17, s13, 0
	s_add_i32 s19, s19, s18
	s_mul_i32 s18, s34, s12
	v_mov_b32_e32 v1, s18
	v_sub_co_u32_e32 v1, vcc, s6, v1
	s_cmp_lg_u64 vcc, 0
	s_subb_u32 s6, s7, s19
	v_subrev_co_u32_e32 v4, vcc, s34, v1
	s_cmp_lg_u64 vcc, 0
	s_subb_u32 s7, s6, 0
	v_readfirstlane_b32 s18, v4
	s_cmp_ge_u32 s18, s34
	s_cselect_b32 s18, -1, 0
	s_cmp_eq_u32 s7, 0
	s_cselect_b32 s7, s18, -1
	s_cmp_lg_u32 s7, 0
	s_cselect_b32 s7, s17, s15
	v_readfirstlane_b32 s15, v1
	s_cselect_b32 s14, s16, s14
	s_cmp_ge_u32 s15, s34
	s_cselect_b32 s15, -1, 0
	s_cmp_eq_u32 s6, 0
	s_cselect_b32 s6, s15, -1
	s_cmp_lg_u32 s6, 0
	s_cselect_b32 s7, s7, s13
	s_cselect_b32 s6, s14, s12
	s_xor_b64 s[6:7], s[6:7], s[10:11]
	s_sub_u32 s6, s6, s10
	s_subb_u32 s7, s7, s10
	s_cbranch_execnz .LBB11_5
.LBB11_4:
	v_cvt_f32_u32_e32 v1, s34
	s_sub_i32 s4, 0, s34
	s_mov_b32 s7, 0
	v_rcp_iflag_f32_e32 v1, v1
	s_nop 0
	v_mul_f32_e32 v1, 0x4f7ffffe, v1
	v_cvt_u32_f32_e32 v1, v1
	s_nop 0
	v_readfirstlane_b32 s5, v1
	s_mul_i32 s4, s4, s5
	s_mul_hi_u32 s4, s5, s4
	s_add_i32 s5, s5, s4
	s_mul_hi_u32 s4, s9, s5
	s_mul_i32 s6, s4, s34
	s_sub_i32 s6, s9, s6
	s_add_i32 s5, s4, 1
	s_sub_i32 s9, s6, s34
	s_cmp_ge_u32 s6, s34
	s_cselect_b32 s4, s5, s4
	s_cselect_b32 s6, s9, s6
	s_add_i32 s5, s4, 1
	s_cmp_ge_u32 s6, s34
	s_cselect_b32 s6, s5, s4
.LBB11_5:
	v_mov_b32_e32 v1, 0
	v_mov_b32_e32 v4, s2
	v_mad_u64_u32 v[12:13], s[4:5], s8, v4, v[0:1]
	s_add_u32 s2, s6, 1
	s_addc_u32 s4, s7, 0
	s_mul_hi_u32 s3, s3, s8
	s_mul_i32 s4, s22, s4
	s_mul_hi_u32 s5, s22, s2
	s_add_i32 s4, s5, s4
	s_mul_i32 s3, s3, s2
	s_add_i32 s3, s4, s3
	s_mul_i32 s2, s22, s2
	s_lshl_b64 s[40:41], s[2:3], 2
	v_cmp_gt_i64_e32 vcc, s[40:41], v[12:13]
	s_and_saveexec_b64 s[2:3], vcc
	s_cbranch_execz .LBB11_82
; %bb.6:
	v_mov_b32_e32 v0, v11
	s_mov_b64 s[2:3], 0xdb3d7428
	v_lshl_add_u64 v[14:15], v[0:1], 0, s[2:3]
	s_mov_b64 s[2:3], 0x5384540f
	v_lshl_add_u64 v[16:17], v[10:11], 0, s[2:3]
	;; [unrolled: 2-line block ×7, first 2 shown]
	s_mov_b64 s[2:3], 0x9e3779b9
	v_alignbit_b32 v15, v3, v2, 2
	s_mov_b32 s33, 0xd2511f53
	v_lshl_add_u64 v[28:29], v[10:11], 0, s[2:3]
	v_mad_u64_u32 v[4:5], s[2:3], v15, s33, 0
	v_and_b32_e32 v48, 3, v2
	v_xor_b32_e32 v2, v5, v11
	v_xor_b32_e32 v2, v2, v13
	s_mov_b32 s68, 0xcd9e8d57
	v_mad_u64_u32 v[6:7], s[2:3], v2, s68, 0
	v_xor_b32_e32 v2, v28, v7
	v_mad_u64_u32 v[8:9], s[2:3], v12, s68, 0
	v_xor_b32_e32 v2, v2, v8
	;; [unrolled: 2-line block ×3, first 2 shown]
	v_lshrrev_b32_e32 v17, 2, v3
	v_xor_b32_e32 v2, v2, v17
	v_xor_b32_e32 v5, v26, v37
	v_mad_u64_u32 v[2:3], s[2:3], v2, s33, 0
	v_xor_b32_e32 v2, v5, v2
	v_mad_u64_u32 v[8:9], s[2:3], v2, s68, 0
	s_mov_b64 s[2:3], 0xbb67ae85
	s_nop 0
	v_lshl_add_u64 v[30:31], v[0:1], 0, s[2:3]
	v_xor_b32_e32 v2, v30, v3
	v_xor_b32_e32 v2, v2, v4
	v_xor_b32_e32 v5, v24, v9
	v_mad_u64_u32 v[2:3], s[2:3], v2, s68, 0
	v_xor_b32_e32 v2, v5, v2
	v_mad_u64_u32 v[4:5], s[2:3], v2, s33, 0
	s_mov_b64 s[2:3], 0x3c6ef372
	s_nop 0
	v_lshl_add_u64 v[32:33], v[10:11], 0, s[2:3]
	v_xor_b32_e32 v2, v32, v3
	v_xor_b32_e32 v2, v2, v6
	v_xor_b32_e32 v5, v22, v5
	v_mad_u64_u32 v[2:3], s[2:3], v2, s33, 0
	v_xor_b32_e32 v2, v5, v2
	v_mad_u64_u32 v[6:7], s[2:3], v2, s68, 0
	s_mov_b64 s[2:3], 0x32370b8f
	s_nop 0
	v_lshl_add_u64 v[34:35], v[0:1], 0, s[2:3]
	v_xor_b32_e32 v2, v34, v3
	v_xor_b32_e32 v2, v2, v36
	v_xor_b32_e32 v5, v20, v7
	v_mad_u64_u32 v[2:3], s[2:3], v2, s68, 0
	v_xor_b32_e32 v2, v5, v2
	v_mad_u64_u32 v[44:45], s[2:3], v2, s33, 0
	s_mov_b64 s[2:3], 0x78dde6e4
	s_nop 0
	v_lshl_add_u64 v[36:37], v[10:11], 0, s[2:3]
	v_xor_b32_e32 v2, v36, v3
	v_xor_b32_e32 v2, v2, v8
	v_xor_b32_e32 v5, v18, v45
	v_mad_u64_u32 v[2:3], s[2:3], v2, s33, 0
	v_xor_b32_e32 v2, v5, v2
	v_mad_u64_u32 v[8:9], s[2:3], v2, s68, 0
	s_mov_b64 s[2:3], 0xa9066899
	s_nop 0
	v_lshl_add_u64 v[38:39], v[0:1], 0, s[2:3]
	v_xor_b32_e32 v2, v38, v3
	v_xor_b32_e32 v2, v2, v4
	v_xor_b32_e32 v5, v16, v9
	v_mad_u64_u32 v[2:3], s[2:3], v2, s68, 0
	v_xor_b32_e32 v2, v5, v2
	v_mad_u64_u32 v[46:47], s[2:3], v2, s33, 0
	s_mov_b64 s[2:3], 0xb54cda56
	s_nop 0
	v_lshl_add_u64 v[40:41], v[10:11], 0, s[2:3]
	v_xor_b32_e32 v2, v40, v3
	v_xor_b32_e32 v2, v2, v6
	v_xor_b32_e32 v4, v14, v47
	v_mad_u64_u32 v[2:3], s[2:3], v2, s33, 0
	v_xor_b32_e32 v2, v4, v2
	v_mad_u64_u32 v[52:53], s[2:3], v2, s68, 0
	s_mov_b64 s[2:3], 0x1fd5c5a3
	s_nop 0
	v_lshl_add_u64 v[42:43], v[0:1], 0, s[2:3]
	v_xor_b32_e32 v0, v42, v3
	v_xor_b32_e32 v0, v0, v44
	v_mad_u64_u32 v[0:1], s[2:3], v0, s68, 0
	s_mov_b64 s[2:3], 0xf1bbcdc8
	s_load_dwordx8 s[4:11], s[0:1], 0x30
	v_add_u32_e32 v49, 0x8ff34781, v10
	v_xor_b32_e32 v0, v53, v0
	v_lshl_add_u64 v[44:45], v[10:11], 0, s[2:3]
	v_xor_b32_e32 v4, v49, v0
	v_xor_b32_e32 v0, v44, v1
	;; [unrolled: 1-line block ×3, first 2 shown]
	s_add_u32 s42, s0, 48
	v_mad_u64_u32 v[0:1], s[2:3], v0, s33, 0
	s_addc_u32 s43, s1, 0
	s_waitcnt lgkmcnt(0)
	s_add_i32 s2, s4, -1
	s_cmp_gt_u32 s2, 1
	s_cselect_b64 s[44:45], -1, 0
	s_cmp_lg_u32 s4, 0
	s_cselect_b64 s[46:47], -1, 0
	s_add_u32 s48, s0, 0xf4
	s_addc_u32 s49, s1, 0
	s_min_u32 s3, s2, 15
	s_cmp_gt_u32 s4, 1
	s_cselect_b64 s[50:51], -1, 0
	s_add_i32 s3, s3, 1
	s_mov_b32 s4, s9
	s_load_dwordx2 s[52:53], s[0:1], 0xf4
	s_load_dwordx4 s[24:27], s[0:1], 0x138
	s_lshl_b32 s54, s22, 1
	s_and_b32 s9, s3, 3
	s_cmp_lg_u32 s2, 2
	s_cselect_b64 s[58:59], -1, 0
	s_and_b32 s11, s3, 28
	s_mov_b32 s23, 0
	v_add_u32_e32 v50, 0x96a522ad, v11
	v_xor_b32_e32 v1, v1, v46
	s_cmp_lg_u32 s9, 0
	v_xor_b32_e32 v6, v50, v1
	v_mov_b32_e32 v5, v52
	v_mov_b32_e32 v7, v0
	s_mov_b32 s55, s23
	s_mul_i32 s56, s22, 3
	s_mov_b32 s57, s23
	s_mov_b64 s[60:61], 0
	s_cselect_b64 s[62:63], -1, 0
	v_mov_b32_e32 v19, 0x2f800000
	v_mov_b32_e32 v21, 0x30c90fdb
	s_mov_b32 s69, 0x800000
	s_mov_b32 s70, 0x3f317217
	;; [unrolled: 1-line block ×4, first 2 shown]
	v_mov_b32_e32 v23, 0x260
	s_mov_b32 s73, 0x3fb8aa3b
	s_mov_b32 s74, 0xc2ce8ed0
	;; [unrolled: 1-line block ×3, first 2 shown]
	v_mov_b32_e32 v25, 0x4f800000
	v_mov_b32_e32 v27, 0x41b17218
	;; [unrolled: 1-line block ×5, first 2 shown]
	s_branch .LBB11_9
.LBB11_7:                               ;   in Loop: Header=BB11_9 Depth=1
	v_mul_f32_e32 v3, 0.15915494, v3
	v_cos_f32_e32 v3, v3
	s_waitcnt lgkmcnt(0)
	v_mov_b32_e32 v5, s26
	v_mul_f32_e32 v3, v3, v8
	v_fma_f32 v3, s27, v3, v5
	v_mul_f32_e32 v5, 0x3fb8aa3b, v3
	v_fma_f32 v6, v3, s73, -v5
	v_rndne_f32_e32 v7, v5
	v_fmac_f32_e32 v6, 0x32a5705f, v3
	v_sub_f32_e32 v5, v5, v7
	v_add_f32_e32 v5, v5, v6
	v_cvt_i32_f32_e32 v6, v7
	v_exp_f32_e32 v5, v5
	v_cmp_ngt_f32_e32 vcc, s74, v3
	v_ldexp_f32 v5, v5, v6
	s_nop 0
	v_cndmask_b32_e32 v5, 0, v5, vcc
	v_cmp_nlt_f32_e32 vcc, s75, v3
	s_nop 1
	v_cndmask_b32_e32 v3, v29, v5, vcc
	v_cvt_f16_f32_e32 v3, v3
	global_store_short v4, v3, s[24:25]
.LBB11_8:                               ;   in Loop: Header=BB11_9 Depth=1
	s_or_b64 exec, exec, s[36:37]
	v_mov_b32_e32 v3, v46
	v_lshl_add_u64 v[12:13], v[12:13], 0, s[34:35]
	v_cmp_le_i64_e32 vcc, s[40:41], v[12:13]
	v_mov_b64_e32 v[6:7], v[2:3]
	s_or_b64 s[60:61], vcc, s[60:61]
	v_mov_b64_e32 v[4:5], v[0:1]
	s_waitcnt lgkmcnt(0)
	s_barrier
	s_andn2_b64 exec, exec, s[60:61]
	s_cbranch_execz .LBB11_82
.LBB11_9:                               ; =>This Loop Header: Depth=1
                                        ;     Child Loop BB11_24 Depth 2
                                        ;     Child Loop BB11_30 Depth 2
	;; [unrolled: 1-line block ×8, first 2 shown]
	v_add_co_u32_e32 v15, vcc, 1, v15
	s_nop 1
	v_cndmask_b32_e64 v0, 0, 1, vcc
	v_addc_co_u32_e32 v17, vcc, 0, v17, vcc
	v_cmp_eq_u32_e32 vcc, 0, v17
	s_nop 1
	v_cndmask_b32_e32 v0, 0, v0, vcc
	v_add_u32_e32 v31, v0, v31
	v_cmp_eq_u32_e32 vcc, 0, v31
	v_mad_u64_u32 v[2:3], s[0:1], v31, s68, 0
	s_nop 0
	v_cndmask_b32_e32 v0, 0, v0, vcc
	v_add_u32_e32 v33, v0, v33
	v_mad_u64_u32 v[0:1], s[0:1], v15, s33, 0
	v_xor_b32_e32 v1, v1, v11
	v_xor_b32_e32 v3, v3, v10
	v_xor_b32_e32 v1, v33, v1
	v_xor_b32_e32 v3, v17, v3
	v_mad_u64_u32 v[46:47], s[0:1], v1, s68, 0
	v_mad_u64_u32 v[8:9], s[0:1], v3, s33, 0
	v_xor_b32_e32 v1, v28, v47
	v_xor_b32_e32 v1, v1, v2
	v_xor_b32_e32 v2, v30, v9
	v_xor_b32_e32 v2, v2, v0
	v_mad_u64_u32 v[0:1], s[0:1], v1, s33, 0
	;; [unrolled: 6-line block ×9, first 2 shown]
	v_mad_u64_u32 v[8:9], s[0:1], v3, s68, 0
	v_xor_b32_e32 v1, v47, v2
	v_xor_b32_e32 v0, v9, v0
	;; [unrolled: 1-line block ×4, first 2 shown]
	v_mov_b32_e32 v1, v8
	v_mov_b32_e32 v2, v9
	v_cmp_lt_i32_e32 vcc, 1, v48
	s_and_saveexec_b64 s[0:1], vcc
	s_xor_b64 s[0:1], exec, s[0:1]
	s_cbranch_execz .LBB11_15
; %bb.10:                               ;   in Loop: Header=BB11_9 Depth=1
	v_cmp_lt_i32_e32 vcc, 2, v48
	s_and_saveexec_b64 s[2:3], vcc
	s_xor_b64 s[2:3], exec, s[2:3]
; %bb.11:                               ;   in Loop: Header=BB11_9 Depth=1
	v_mov_b32_e32 v6, v7
	v_mov_b32_e32 v7, v0
	v_mov_b64_e32 v[4:5], v[6:7]
	v_mov_b64_e32 v[6:7], v[8:9]
                                        ; implicit-def: $vgpr8_vgpr9
; %bb.12:                               ;   in Loop: Header=BB11_9 Depth=1
	s_andn2_saveexec_b64 s[2:3], s[2:3]
; %bb.13:                               ;   in Loop: Header=BB11_9 Depth=1
	v_mov_b32_e32 v4, v6
	v_mov_b32_e32 v5, v7
	;; [unrolled: 1-line block ×4, first 2 shown]
; %bb.14:                               ;   in Loop: Header=BB11_9 Depth=1
	s_or_b64 exec, exec, s[2:3]
.LBB11_15:                              ;   in Loop: Header=BB11_9 Depth=1
	s_andn2_saveexec_b64 s[0:1], s[0:1]
	s_cbranch_execz .LBB11_19
; %bb.16:                               ;   in Loop: Header=BB11_9 Depth=1
	v_cmp_eq_u32_e32 vcc, 1, v48
	s_and_saveexec_b64 s[2:3], vcc
; %bb.17:                               ;   in Loop: Header=BB11_9 Depth=1
	v_mov_b32_e32 v4, v5
	v_mov_b32_e32 v5, v6
	;; [unrolled: 1-line block ×4, first 2 shown]
; %bb.18:                               ;   in Loop: Header=BB11_9 Depth=1
	s_or_b64 exec, exec, s[2:3]
.LBB11_19:                              ;   in Loop: Header=BB11_9 Depth=1
	s_or_b64 exec, exec, s[0:1]
	v_cvt_f32_u32_e32 v3, v4
	v_fmamk_f32 v3, v3, 0x2f800000, v19
	v_cmp_gt_f32_e32 vcc, s69, v3
	s_nop 1
	v_cndmask_b32_e32 v4, 1.0, v25, vcc
	v_mul_f32_e32 v3, v3, v4
	v_log_f32_e32 v3, v3
	v_cvt_f32_u32_e32 v4, v5
	v_cndmask_b32_e32 v5, 0, v27, vcc
	v_mul_f32_e32 v8, 0x3f317217, v3
	v_fma_f32 v9, v3, s70, -v8
	v_fmac_f32_e32 v9, 0x3377d1cf, v3
	v_add_f32_e32 v8, v8, v9
	v_cmp_lt_f32_e64 vcc, |v3|, s71
	s_nop 1
	v_cndmask_b32_e32 v3, v3, v8, vcc
	v_sub_f32_e32 v3, v3, v5
	v_mul_f32_e32 v3, -2.0, v3
	v_mul_f32_e32 v5, 0x4f800000, v3
	v_cmp_gt_f32_e32 vcc, s72, v3
	s_nop 1
	v_cndmask_b32_e32 v5, v3, v5, vcc
	v_sqrt_f32_e32 v8, v5
	v_fmamk_f32 v3, v4, 0x30c90fdb, v21
	v_add_u32_e32 v4, -1, v8
	v_add_u32_e32 v9, 1, v8
	v_fma_f32 v35, -v4, v8, v5
	v_fma_f32 v37, -v9, v8, v5
	v_cmp_ge_f32_e64 s[0:1], 0, v35
	s_nop 1
	v_cndmask_b32_e64 v4, v8, v4, s[0:1]
	v_cmp_lt_f32_e64 s[0:1], 0, v37
	s_nop 1
	v_cndmask_b32_e64 v4, v4, v9, s[0:1]
	v_mul_f32_e32 v8, 0x37800000, v4
	v_cndmask_b32_e32 v4, v4, v8, vcc
	v_cmp_class_f32_e32 vcc, v5, v23
	s_nop 1
	v_cndmask_b32_e32 v35, v4, v5, vcc
	v_cndmask_b32_e64 v4, 0, 1, s[44:45]
	v_cmp_gt_i64_e32 vcc, s[20:21], v[12:13]
	v_cmp_ne_u32_e64 s[0:1], 1, v4
	s_and_saveexec_b64 s[2:3], vcc
	s_cbranch_execz .LBB11_35
; %bb.20:                               ;   in Loop: Header=BB11_9 Depth=1
	s_and_b64 vcc, exec, s[0:1]
	s_cbranch_vccnz .LBB11_26
; %bb.21:                               ;   in Loop: Header=BB11_9 Depth=1
	s_andn2_b64 vcc, exec, s[46:47]
	s_cbranch_vccnz .LBB11_27
; %bb.22:                               ;   in Loop: Header=BB11_9 Depth=1
	s_mov_b32 s14, 0
	s_andn2_b64 vcc, exec, s[58:59]
	v_mov_b32_e32 v4, 0
	s_cbranch_vccnz .LBB11_28
; %bb.23:                               ;   in Loop: Header=BB11_9 Depth=1
	s_mov_b32 s76, 0
	v_mov_b32_e32 v4, 0
	s_mov_b64 s[64:65], s[42:43]
	s_mov_b64 s[66:67], s[48:49]
	v_mov_b32_e32 v8, v12
.LBB11_24:                              ;   Parent Loop BB11_9 Depth=1
                                        ; =>  This Inner Loop Header: Depth=2
	s_load_dwordx8 s[12:19], s[64:65], 0x4
	s_load_dwordx4 s[28:31], s[64:65], 0x24
	s_load_dwordx4 s[36:39], s[66:67], 0x0
	s_add_u32 s64, s64, 48
	s_addc_u32 s65, s65, 0
	s_waitcnt lgkmcnt(0)
	v_mul_hi_u32 v5, s13, v8
	v_add_u32_e32 v5, v8, v5
	v_lshrrev_b32_e32 v5, s14, v5
	v_mul_lo_u32 v9, v5, s12
	v_mul_hi_u32 v37, s16, v5
	v_sub_u32_e32 v8, v8, v9
	v_add_u32_e32 v9, v5, v37
	v_lshrrev_b32_e32 v9, s17, v9
	v_mul_lo_u32 v37, v9, s15
	v_mul_hi_u32 v39, s19, v9
	v_sub_u32_e32 v5, v5, v37
	v_add_u32_e32 v37, v9, v39
	v_mul_lo_u32 v8, v8, s36
	v_mul_lo_u32 v5, v5, s37
	v_lshrrev_b32_e32 v37, s28, v37
	v_add3_u32 v4, v8, v4, v5
	v_mul_hi_u32 v8, s30, v37
	v_add_u32_e32 v8, v37, v8
	v_mul_lo_u32 v5, v37, s18
	v_lshrrev_b32_e32 v8, s31, v8
	s_add_i32 s76, s76, 4
	v_sub_u32_e32 v5, v9, v5
	v_mul_lo_u32 v9, v8, s29
	s_add_u32 s66, s66, 16
	v_sub_u32_e32 v9, v37, v9
	s_addc_u32 s67, s67, 0
	v_mul_lo_u32 v5, v5, s38
	v_mul_lo_u32 v9, v9, s39
	s_cmp_lg_u32 s11, s76
	v_add3_u32 v4, v5, v4, v9
	s_cbranch_scc1 .LBB11_24
; %bb.25:                               ;   in Loop: Header=BB11_9 Depth=1
	s_mov_b32 s14, s11
	s_andn2_b64 vcc, exec, s[62:63]
	s_cbranch_vccz .LBB11_29
	s_branch .LBB11_31
.LBB11_26:                              ;   in Loop: Header=BB11_9 Depth=1
                                        ; implicit-def: $vgpr4
	s_branch .LBB11_32
.LBB11_27:                              ;   in Loop: Header=BB11_9 Depth=1
	v_mov_b32_e32 v4, 0
	s_branch .LBB11_31
.LBB11_28:                              ;   in Loop: Header=BB11_9 Depth=1
	v_mov_b32_e32 v8, v12
	s_andn2_b64 vcc, exec, s[62:63]
	s_cbranch_vccnz .LBB11_31
.LBB11_29:                              ;   in Loop: Header=BB11_9 Depth=1
	s_lshl_b32 s12, s14, 2
	s_add_u32 s12, s48, s12
	s_addc_u32 s13, s49, 0
	s_mul_i32 s14, s14, 12
	s_add_u32 s14, s42, s14
	s_addc_u32 s15, s43, 0
	s_mov_b32 s16, s9
.LBB11_30:                              ;   Parent Loop BB11_9 Depth=1
                                        ; =>  This Inner Loop Header: Depth=2
	s_load_dwordx2 s[18:19], s[14:15], 0x4
	s_load_dword s17, s[14:15], 0xc
	s_load_dword s28, s[12:13], 0x0
	s_add_u32 s14, s14, 12
	s_addc_u32 s15, s15, 0
	s_waitcnt lgkmcnt(0)
	v_mul_hi_u32 v5, s19, v8
	v_add_u32_e32 v5, v8, v5
	v_lshrrev_b32_e32 v5, s17, v5
	s_add_u32 s12, s12, 4
	v_mul_lo_u32 v9, v5, s18
	s_addc_u32 s13, s13, 0
	s_add_i32 s16, s16, -1
	v_sub_u32_e32 v9, v8, v9
	s_cmp_lg_u32 s16, 0
	v_mov_b32_e32 v8, v5
	v_mad_u64_u32 v[4:5], s[18:19], v9, s28, v[4:5]
	s_cbranch_scc1 .LBB11_30
.LBB11_31:                              ;   in Loop: Header=BB11_9 Depth=1
	s_cbranch_execnz .LBB11_34
.LBB11_32:                              ;   in Loop: Header=BB11_9 Depth=1
	v_mul_hi_u32 v4, v12, s6
	v_add_u32_e32 v4, v4, v12
	v_lshrrev_b32_e32 v5, s7, v4
	v_mul_lo_u32 v4, v5, s5
	v_sub_u32_e32 v4, v12, v4
	s_andn2_b64 vcc, exec, s[50:51]
	s_waitcnt lgkmcnt(0)
	v_mul_lo_u32 v4, v4, s52
	s_cbranch_vccnz .LBB11_34
; %bb.33:                               ;   in Loop: Header=BB11_9 Depth=1
	v_mul_hi_u32 v8, s4, v5
	v_add_u32_e32 v8, v5, v8
	v_lshrrev_b32_e32 v8, s10, v8
	v_mul_lo_u32 v8, v8, s8
	v_sub_u32_e32 v5, v5, v8
	v_mad_u64_u32 v[4:5], s[12:13], v5, s53, v[4:5]
.LBB11_34:                              ;   in Loop: Header=BB11_9 Depth=1
	v_mul_f32_e32 v5, 0.15915494, v3
	v_sin_f32_e32 v5, v5
	s_waitcnt lgkmcnt(0)
	v_mov_b32_e32 v8, s26
	v_mul_f32_e32 v5, v5, v35
	v_fma_f32 v5, s27, v5, v8
	v_mul_f32_e32 v8, 0x3fb8aa3b, v5
	v_fma_f32 v9, v5, s73, -v8
	v_rndne_f32_e32 v37, v8
	v_fmac_f32_e32 v9, 0x32a5705f, v5
	v_sub_f32_e32 v8, v8, v37
	v_add_f32_e32 v8, v8, v9
	v_cvt_i32_f32_e32 v9, v37
	v_exp_f32_e32 v8, v8
	v_cmp_ngt_f32_e32 vcc, s74, v5
	v_ldexp_f32 v8, v8, v9
	s_nop 0
	v_cndmask_b32_e32 v8, 0, v8, vcc
	v_cmp_nlt_f32_e32 vcc, s75, v5
	s_nop 1
	v_cndmask_b32_e32 v5, v29, v8, vcc
	v_cvt_f16_f32_e32 v5, v5
	global_store_short v4, v5, s[24:25]
.LBB11_35:                              ;   in Loop: Header=BB11_9 Depth=1
	s_or_b64 exec, exec, s[2:3]
	v_lshl_add_u64 v[8:9], v[12:13], 0, s[22:23]
	v_cmp_gt_i64_e32 vcc, s[20:21], v[8:9]
	s_and_saveexec_b64 s[2:3], vcc
	s_cbranch_execz .LBB11_51
; %bb.36:                               ;   in Loop: Header=BB11_9 Depth=1
	s_and_b64 vcc, exec, s[0:1]
	s_cbranch_vccnz .LBB11_42
; %bb.37:                               ;   in Loop: Header=BB11_9 Depth=1
	s_andn2_b64 vcc, exec, s[46:47]
	s_cbranch_vccnz .LBB11_43
; %bb.38:                               ;   in Loop: Header=BB11_9 Depth=1
	s_mov_b32 s14, 0
	s_andn2_b64 vcc, exec, s[58:59]
	v_mov_b32_e32 v4, 0
	s_cbranch_vccnz .LBB11_44
; %bb.39:                               ;   in Loop: Header=BB11_9 Depth=1
	s_mov_b32 s76, 0
	v_mov_b32_e32 v4, 0
	s_mov_b64 s[64:65], s[42:43]
	s_mov_b64 s[66:67], s[48:49]
	v_mov_b32_e32 v9, v8
.LBB11_40:                              ;   Parent Loop BB11_9 Depth=1
                                        ; =>  This Inner Loop Header: Depth=2
	s_load_dwordx8 s[12:19], s[64:65], 0x4
	s_load_dwordx4 s[28:31], s[64:65], 0x24
	s_load_dwordx4 s[36:39], s[66:67], 0x0
	s_add_u32 s64, s64, 48
	s_addc_u32 s65, s65, 0
	s_waitcnt lgkmcnt(0)
	v_mul_hi_u32 v5, s13, v9
	v_add_u32_e32 v5, v9, v5
	v_lshrrev_b32_e32 v5, s14, v5
	v_mul_lo_u32 v37, v5, s12
	v_mul_hi_u32 v39, s16, v5
	v_sub_u32_e32 v9, v9, v37
	v_add_u32_e32 v37, v5, v39
	v_lshrrev_b32_e32 v37, s17, v37
	v_mul_lo_u32 v39, v37, s15
	v_mul_hi_u32 v41, s19, v37
	v_sub_u32_e32 v5, v5, v39
	v_add_u32_e32 v39, v37, v41
	v_mul_lo_u32 v9, v9, s36
	v_mul_lo_u32 v5, v5, s37
	v_lshrrev_b32_e32 v39, s28, v39
	v_add3_u32 v4, v9, v4, v5
	v_mul_hi_u32 v9, s30, v39
	v_add_u32_e32 v9, v39, v9
	v_mul_lo_u32 v5, v39, s18
	v_lshrrev_b32_e32 v9, s31, v9
	s_add_i32 s76, s76, 4
	v_sub_u32_e32 v5, v37, v5
	v_mul_lo_u32 v37, v9, s29
	s_add_u32 s66, s66, 16
	v_sub_u32_e32 v37, v39, v37
	s_addc_u32 s67, s67, 0
	v_mul_lo_u32 v5, v5, s38
	v_mul_lo_u32 v37, v37, s39
	s_cmp_eq_u32 s11, s76
	v_add3_u32 v4, v5, v4, v37
	s_cbranch_scc0 .LBB11_40
; %bb.41:                               ;   in Loop: Header=BB11_9 Depth=1
	s_mov_b32 s14, s11
	s_andn2_b64 vcc, exec, s[62:63]
	s_cbranch_vccz .LBB11_45
	s_branch .LBB11_47
.LBB11_42:                              ;   in Loop: Header=BB11_9 Depth=1
                                        ; implicit-def: $vgpr4
	s_branch .LBB11_48
.LBB11_43:                              ;   in Loop: Header=BB11_9 Depth=1
	v_mov_b32_e32 v4, 0
	s_branch .LBB11_47
.LBB11_44:                              ;   in Loop: Header=BB11_9 Depth=1
	v_mov_b32_e32 v9, v8
	s_andn2_b64 vcc, exec, s[62:63]
	s_cbranch_vccnz .LBB11_47
.LBB11_45:                              ;   in Loop: Header=BB11_9 Depth=1
	s_lshl_b32 s12, s14, 2
	s_add_u32 s12, s48, s12
	s_addc_u32 s13, s49, 0
	s_mul_i32 s14, s14, 12
	s_add_u32 s14, s42, s14
	s_addc_u32 s15, s43, 0
	s_mov_b32 s16, s9
.LBB11_46:                              ;   Parent Loop BB11_9 Depth=1
                                        ; =>  This Inner Loop Header: Depth=2
	s_load_dwordx2 s[18:19], s[14:15], 0x4
	s_load_dword s17, s[14:15], 0xc
	s_load_dword s28, s[12:13], 0x0
	s_add_u32 s14, s14, 12
	s_addc_u32 s15, s15, 0
	s_waitcnt lgkmcnt(0)
	v_mul_hi_u32 v5, s19, v9
	v_add_u32_e32 v5, v9, v5
	v_lshrrev_b32_e32 v5, s17, v5
	s_add_u32 s12, s12, 4
	v_mul_lo_u32 v37, v5, s18
	s_addc_u32 s13, s13, 0
	s_add_i32 s16, s16, -1
	v_sub_u32_e32 v37, v9, v37
	s_cmp_lg_u32 s16, 0
	v_mov_b32_e32 v9, v5
	v_mad_u64_u32 v[4:5], s[18:19], v37, s28, v[4:5]
	s_cbranch_scc1 .LBB11_46
.LBB11_47:                              ;   in Loop: Header=BB11_9 Depth=1
	s_cbranch_execnz .LBB11_50
.LBB11_48:                              ;   in Loop: Header=BB11_9 Depth=1
	v_mul_hi_u32 v4, v8, s6
	v_add_u32_e32 v4, v4, v8
	v_lshrrev_b32_e32 v5, s7, v4
	v_mul_lo_u32 v4, v5, s5
	v_sub_u32_e32 v4, v8, v4
	s_andn2_b64 vcc, exec, s[50:51]
	s_waitcnt lgkmcnt(0)
	v_mul_lo_u32 v4, v4, s52
	s_cbranch_vccnz .LBB11_50
; %bb.49:                               ;   in Loop: Header=BB11_9 Depth=1
	v_mul_hi_u32 v8, s4, v5
	v_add_u32_e32 v8, v5, v8
	v_lshrrev_b32_e32 v8, s10, v8
	v_mul_lo_u32 v8, v8, s8
	v_sub_u32_e32 v5, v5, v8
	v_mad_u64_u32 v[4:5], s[12:13], v5, s53, v[4:5]
.LBB11_50:                              ;   in Loop: Header=BB11_9 Depth=1
	v_mul_f32_e32 v3, 0.15915494, v3
	v_cos_f32_e32 v3, v3
	s_waitcnt lgkmcnt(0)
	v_mov_b32_e32 v5, s26
	v_mul_f32_e32 v3, v3, v35
	v_fma_f32 v3, s27, v3, v5
	v_mul_f32_e32 v5, 0x3fb8aa3b, v3
	v_fma_f32 v8, v3, s73, -v5
	v_rndne_f32_e32 v9, v5
	v_fmac_f32_e32 v8, 0x32a5705f, v3
	v_sub_f32_e32 v5, v5, v9
	v_add_f32_e32 v5, v5, v8
	v_cvt_i32_f32_e32 v8, v9
	v_exp_f32_e32 v5, v5
	v_cmp_ngt_f32_e32 vcc, s74, v3
	v_ldexp_f32 v5, v5, v8
	s_nop 0
	v_cndmask_b32_e32 v5, 0, v5, vcc
	v_cmp_nlt_f32_e32 vcc, s75, v3
	s_nop 1
	v_cndmask_b32_e32 v3, v29, v5, vcc
	v_cvt_f16_f32_e32 v3, v3
	global_store_short v4, v3, s[24:25]
.LBB11_51:                              ;   in Loop: Header=BB11_9 Depth=1
	s_or_b64 exec, exec, s[2:3]
	v_cvt_f32_u32_e32 v3, v6
	v_fmamk_f32 v3, v3, 0x2f800000, v19
	v_cmp_gt_f32_e32 vcc, s69, v3
	s_nop 1
	v_cndmask_b32_e32 v4, 1.0, v25, vcc
	v_mul_f32_e32 v3, v3, v4
	v_log_f32_e32 v3, v3
	v_cvt_f32_u32_e32 v4, v7
	v_cndmask_b32_e32 v5, 0, v27, vcc
	v_mul_f32_e32 v6, 0x3f317217, v3
	v_fma_f32 v7, v3, s70, -v6
	v_fmac_f32_e32 v7, 0x3377d1cf, v3
	v_add_f32_e32 v6, v6, v7
	v_cmp_lt_f32_e64 vcc, |v3|, s71
	s_nop 1
	v_cndmask_b32_e32 v3, v3, v6, vcc
	v_sub_f32_e32 v3, v3, v5
	v_mul_f32_e32 v3, -2.0, v3
	v_mul_f32_e32 v5, 0x4f800000, v3
	v_cmp_gt_f32_e32 vcc, s72, v3
	s_nop 1
	v_cndmask_b32_e32 v5, v3, v5, vcc
	v_sqrt_f32_e32 v6, v5
	v_fmamk_f32 v3, v4, 0x30c90fdb, v21
	v_add_u32_e32 v4, -1, v6
	v_add_u32_e32 v7, 1, v6
	v_fma_f32 v8, -v4, v6, v5
	v_fma_f32 v9, -v7, v6, v5
	v_cmp_ge_f32_e64 s[2:3], 0, v8
	s_nop 1
	v_cndmask_b32_e64 v4, v6, v4, s[2:3]
	v_cmp_lt_f32_e64 s[2:3], 0, v9
	s_nop 1
	v_cndmask_b32_e64 v4, v4, v7, s[2:3]
	v_mul_f32_e32 v6, 0x37800000, v4
	v_cndmask_b32_e32 v4, v4, v6, vcc
	v_cmp_class_f32_e32 vcc, v5, v23
	v_lshl_add_u64 v[6:7], v[12:13], 0, s[54:55]
	s_nop 0
	v_cndmask_b32_e32 v8, v4, v5, vcc
	v_cmp_gt_i64_e32 vcc, s[20:21], v[6:7]
	s_and_saveexec_b64 s[2:3], vcc
	s_cbranch_execz .LBB11_67
; %bb.52:                               ;   in Loop: Header=BB11_9 Depth=1
	s_and_b64 vcc, exec, s[0:1]
	s_cbranch_vccnz .LBB11_58
; %bb.53:                               ;   in Loop: Header=BB11_9 Depth=1
	s_andn2_b64 vcc, exec, s[46:47]
	s_cbranch_vccnz .LBB11_59
; %bb.54:                               ;   in Loop: Header=BB11_9 Depth=1
	s_mov_b32 s14, 0
	s_andn2_b64 vcc, exec, s[58:59]
	v_mov_b32_e32 v4, 0
	s_cbranch_vccnz .LBB11_60
; %bb.55:                               ;   in Loop: Header=BB11_9 Depth=1
	s_mov_b32 s76, 0
	v_mov_b32_e32 v4, 0
	s_mov_b64 s[64:65], s[42:43]
	s_mov_b64 s[66:67], s[48:49]
	v_mov_b32_e32 v7, v6
.LBB11_56:                              ;   Parent Loop BB11_9 Depth=1
                                        ; =>  This Inner Loop Header: Depth=2
	s_load_dwordx8 s[12:19], s[64:65], 0x4
	s_load_dwordx4 s[28:31], s[64:65], 0x24
	s_load_dwordx4 s[36:39], s[66:67], 0x0
	s_add_u32 s64, s64, 48
	s_addc_u32 s65, s65, 0
	s_waitcnt lgkmcnt(0)
	v_mul_hi_u32 v5, s13, v7
	v_add_u32_e32 v5, v7, v5
	v_lshrrev_b32_e32 v5, s14, v5
	v_mul_lo_u32 v9, v5, s12
	v_mul_hi_u32 v35, s16, v5
	v_sub_u32_e32 v7, v7, v9
	v_add_u32_e32 v9, v5, v35
	v_lshrrev_b32_e32 v9, s17, v9
	v_mul_lo_u32 v35, v9, s15
	v_mul_hi_u32 v37, s19, v9
	v_sub_u32_e32 v5, v5, v35
	v_add_u32_e32 v35, v9, v37
	v_mul_lo_u32 v7, v7, s36
	v_mul_lo_u32 v5, v5, s37
	v_lshrrev_b32_e32 v35, s28, v35
	v_add3_u32 v4, v7, v4, v5
	v_mul_hi_u32 v7, s30, v35
	v_add_u32_e32 v7, v35, v7
	v_mul_lo_u32 v5, v35, s18
	v_lshrrev_b32_e32 v7, s31, v7
	s_add_i32 s76, s76, 4
	v_sub_u32_e32 v5, v9, v5
	v_mul_lo_u32 v9, v7, s29
	s_add_u32 s66, s66, 16
	v_sub_u32_e32 v9, v35, v9
	s_addc_u32 s67, s67, 0
	v_mul_lo_u32 v5, v5, s38
	v_mul_lo_u32 v9, v9, s39
	s_cmp_eq_u32 s11, s76
	v_add3_u32 v4, v5, v4, v9
	s_cbranch_scc0 .LBB11_56
; %bb.57:                               ;   in Loop: Header=BB11_9 Depth=1
	s_mov_b32 s14, s11
	s_andn2_b64 vcc, exec, s[62:63]
	s_cbranch_vccz .LBB11_61
	s_branch .LBB11_63
.LBB11_58:                              ;   in Loop: Header=BB11_9 Depth=1
                                        ; implicit-def: $vgpr4
	s_branch .LBB11_64
.LBB11_59:                              ;   in Loop: Header=BB11_9 Depth=1
	v_mov_b32_e32 v4, 0
	s_branch .LBB11_63
.LBB11_60:                              ;   in Loop: Header=BB11_9 Depth=1
	v_mov_b32_e32 v7, v6
	s_andn2_b64 vcc, exec, s[62:63]
	s_cbranch_vccnz .LBB11_63
.LBB11_61:                              ;   in Loop: Header=BB11_9 Depth=1
	s_lshl_b32 s12, s14, 2
	s_add_u32 s12, s48, s12
	s_addc_u32 s13, s49, 0
	s_mul_i32 s14, s14, 12
	s_add_u32 s14, s42, s14
	s_addc_u32 s15, s43, 0
	s_mov_b32 s16, s9
.LBB11_62:                              ;   Parent Loop BB11_9 Depth=1
                                        ; =>  This Inner Loop Header: Depth=2
	s_load_dwordx2 s[18:19], s[14:15], 0x4
	s_load_dword s17, s[14:15], 0xc
	s_load_dword s28, s[12:13], 0x0
	s_add_u32 s14, s14, 12
	s_addc_u32 s15, s15, 0
	s_waitcnt lgkmcnt(0)
	v_mul_hi_u32 v5, s19, v7
	v_add_u32_e32 v5, v7, v5
	v_lshrrev_b32_e32 v5, s17, v5
	s_add_u32 s12, s12, 4
	v_mul_lo_u32 v9, v5, s18
	s_addc_u32 s13, s13, 0
	s_add_i32 s16, s16, -1
	v_sub_u32_e32 v9, v7, v9
	s_cmp_lg_u32 s16, 0
	v_mov_b32_e32 v7, v5
	v_mad_u64_u32 v[4:5], s[18:19], v9, s28, v[4:5]
	s_cbranch_scc1 .LBB11_62
.LBB11_63:                              ;   in Loop: Header=BB11_9 Depth=1
	s_cbranch_execnz .LBB11_66
.LBB11_64:                              ;   in Loop: Header=BB11_9 Depth=1
	v_mul_hi_u32 v4, v6, s6
	v_add_u32_e32 v4, v4, v6
	v_lshrrev_b32_e32 v5, s7, v4
	v_mul_lo_u32 v4, v5, s5
	v_sub_u32_e32 v4, v6, v4
	s_andn2_b64 vcc, exec, s[50:51]
	s_waitcnt lgkmcnt(0)
	v_mul_lo_u32 v4, v4, s52
	s_cbranch_vccnz .LBB11_66
; %bb.65:                               ;   in Loop: Header=BB11_9 Depth=1
	v_mul_hi_u32 v6, s4, v5
	v_add_u32_e32 v6, v5, v6
	v_lshrrev_b32_e32 v6, s10, v6
	v_mul_lo_u32 v6, v6, s8
	v_sub_u32_e32 v5, v5, v6
	v_mad_u64_u32 v[4:5], s[12:13], v5, s53, v[4:5]
.LBB11_66:                              ;   in Loop: Header=BB11_9 Depth=1
	v_mul_f32_e32 v5, 0.15915494, v3
	v_sin_f32_e32 v5, v5
	s_waitcnt lgkmcnt(0)
	v_mov_b32_e32 v6, s26
	v_mul_f32_e32 v5, v5, v8
	v_fma_f32 v5, s27, v5, v6
	v_mul_f32_e32 v6, 0x3fb8aa3b, v5
	v_fma_f32 v7, v5, s73, -v6
	v_rndne_f32_e32 v9, v6
	v_fmac_f32_e32 v7, 0x32a5705f, v5
	v_sub_f32_e32 v6, v6, v9
	v_add_f32_e32 v6, v6, v7
	v_cvt_i32_f32_e32 v7, v9
	v_exp_f32_e32 v6, v6
	v_cmp_ngt_f32_e32 vcc, s74, v5
	v_ldexp_f32 v6, v6, v7
	s_nop 0
	v_cndmask_b32_e32 v6, 0, v6, vcc
	v_cmp_nlt_f32_e32 vcc, s75, v5
	s_nop 1
	v_cndmask_b32_e32 v5, v29, v6, vcc
	v_cvt_f16_f32_e32 v5, v5
	global_store_short v4, v5, s[24:25]
.LBB11_67:                              ;   in Loop: Header=BB11_9 Depth=1
	s_or_b64 exec, exec, s[2:3]
	v_lshl_add_u64 v[6:7], v[12:13], 0, s[56:57]
	v_cmp_gt_i64_e32 vcc, s[20:21], v[6:7]
	s_and_saveexec_b64 s[36:37], vcc
	s_cbranch_execz .LBB11_8
; %bb.68:                               ;   in Loop: Header=BB11_9 Depth=1
	s_and_b64 vcc, exec, s[0:1]
	s_cbranch_vccnz .LBB11_74
; %bb.69:                               ;   in Loop: Header=BB11_9 Depth=1
	s_andn2_b64 vcc, exec, s[46:47]
	s_cbranch_vccnz .LBB11_75
; %bb.70:                               ;   in Loop: Header=BB11_9 Depth=1
	s_mov_b32 s2, 0
	s_andn2_b64 vcc, exec, s[58:59]
	v_mov_b32_e32 v4, 0
	s_cbranch_vccnz .LBB11_76
; %bb.71:                               ;   in Loop: Header=BB11_9 Depth=1
	s_mov_b32 s66, 0
	v_mov_b32_e32 v4, 0
	s_mov_b64 s[38:39], s[42:43]
	s_mov_b64 s[64:65], s[48:49]
	v_mov_b32_e32 v7, v6
.LBB11_72:                              ;   Parent Loop BB11_9 Depth=1
                                        ; =>  This Inner Loop Header: Depth=2
	s_load_dwordx8 s[12:19], s[38:39], 0x4
	s_load_dwordx4 s[0:3], s[38:39], 0x24
	s_load_dwordx4 s[28:31], s[64:65], 0x0
	s_add_u32 s38, s38, 48
	s_addc_u32 s39, s39, 0
	s_waitcnt lgkmcnt(0)
	v_mul_hi_u32 v5, s13, v7
	v_add_u32_e32 v5, v7, v5
	v_lshrrev_b32_e32 v5, s14, v5
	v_mul_lo_u32 v9, v5, s12
	v_mul_hi_u32 v35, s16, v5
	v_sub_u32_e32 v7, v7, v9
	v_add_u32_e32 v9, v5, v35
	v_lshrrev_b32_e32 v9, s17, v9
	v_mul_lo_u32 v35, v9, s15
	v_mul_hi_u32 v37, s19, v9
	v_sub_u32_e32 v5, v5, v35
	v_add_u32_e32 v35, v9, v37
	v_mul_lo_u32 v7, v7, s28
	v_mul_lo_u32 v5, v5, s29
	v_lshrrev_b32_e32 v35, s0, v35
	v_add3_u32 v4, v7, v4, v5
	v_mul_hi_u32 v7, s2, v35
	v_add_u32_e32 v7, v35, v7
	v_mul_lo_u32 v5, v35, s18
	v_lshrrev_b32_e32 v7, s3, v7
	s_add_i32 s66, s66, 4
	v_sub_u32_e32 v5, v9, v5
	v_mul_lo_u32 v9, v7, s1
	s_add_u32 s64, s64, 16
	v_sub_u32_e32 v9, v35, v9
	s_addc_u32 s65, s65, 0
	v_mul_lo_u32 v5, v5, s30
	v_mul_lo_u32 v9, v9, s31
	s_cmp_eq_u32 s11, s66
	v_add3_u32 v4, v5, v4, v9
	s_cbranch_scc0 .LBB11_72
; %bb.73:                               ;   in Loop: Header=BB11_9 Depth=1
	s_mov_b32 s2, s11
	s_andn2_b64 vcc, exec, s[62:63]
	s_cbranch_vccz .LBB11_77
	s_branch .LBB11_79
.LBB11_74:                              ;   in Loop: Header=BB11_9 Depth=1
                                        ; implicit-def: $vgpr4
	s_branch .LBB11_80
.LBB11_75:                              ;   in Loop: Header=BB11_9 Depth=1
	v_mov_b32_e32 v4, 0
	s_branch .LBB11_79
.LBB11_76:                              ;   in Loop: Header=BB11_9 Depth=1
	v_mov_b32_e32 v7, v6
	s_andn2_b64 vcc, exec, s[62:63]
	s_cbranch_vccnz .LBB11_79
.LBB11_77:                              ;   in Loop: Header=BB11_9 Depth=1
	s_lshl_b32 s0, s2, 2
	s_add_u32 s0, s48, s0
	s_addc_u32 s1, s49, 0
	s_mul_i32 s2, s2, 12
	s_add_u32 s2, s42, s2
	s_addc_u32 s3, s43, 0
	s_mov_b32 s12, s9
.LBB11_78:                              ;   Parent Loop BB11_9 Depth=1
                                        ; =>  This Inner Loop Header: Depth=2
	s_load_dwordx2 s[14:15], s[2:3], 0x4
	s_load_dword s13, s[2:3], 0xc
	s_load_dword s16, s[0:1], 0x0
	s_add_u32 s2, s2, 12
	s_addc_u32 s3, s3, 0
	s_waitcnt lgkmcnt(0)
	v_mul_hi_u32 v5, s15, v7
	v_add_u32_e32 v5, v7, v5
	v_lshrrev_b32_e32 v5, s13, v5
	s_add_u32 s0, s0, 4
	v_mul_lo_u32 v9, v5, s14
	s_addc_u32 s1, s1, 0
	s_add_i32 s12, s12, -1
	v_sub_u32_e32 v9, v7, v9
	s_cmp_lg_u32 s12, 0
	v_mov_b32_e32 v7, v5
	v_mad_u64_u32 v[4:5], s[14:15], v9, s16, v[4:5]
	s_cbranch_scc1 .LBB11_78
.LBB11_79:                              ;   in Loop: Header=BB11_9 Depth=1
	s_cbranch_execnz .LBB11_7
.LBB11_80:                              ;   in Loop: Header=BB11_9 Depth=1
	v_mul_hi_u32 v4, v6, s6
	v_add_u32_e32 v4, v4, v6
	v_lshrrev_b32_e32 v5, s7, v4
	v_mul_lo_u32 v4, v5, s5
	v_sub_u32_e32 v4, v6, v4
	s_andn2_b64 vcc, exec, s[50:51]
	s_waitcnt lgkmcnt(0)
	v_mul_lo_u32 v4, v4, s52
	s_cbranch_vccnz .LBB11_7
; %bb.81:                               ;   in Loop: Header=BB11_9 Depth=1
	v_mul_hi_u32 v6, s4, v5
	v_add_u32_e32 v6, v5, v6
	v_lshrrev_b32_e32 v6, s10, v6
	v_mul_lo_u32 v6, v6, s8
	v_sub_u32_e32 v5, v5, v6
	v_mad_u64_u32 v[4:5], s[0:1], v5, s53, v[4:5]
	s_branch .LBB11_7
.LBB11_82:
	s_endpgm
.LBB11_83:
                                        ; implicit-def: $sgpr6_sgpr7
	s_andn2_b64 vcc, exec, s[4:5]
	s_cbranch_vccz .LBB11_4
	s_branch .LBB11_5
	.section	.rodata,"a",@progbits
	.p2align	6, 0x0
	.amdhsa_kernel _ZN2at6native12_GLOBAL__N_143distribution_elementwise_grid_stride_kernelIfLi4EZNS0_9templates4cuda20normal_and_transformIN3c104HalfEfPNS_17CUDAGeneratorImplEZZZNS4_17log_normal_kernelIS9_EEvRNS_18TensorIteratorBaseEddT_ENKUlvE_clEvENKUlvE1_clEvEUlfE_EEvSC_T1_T2_EUlP25hiprandStatePhilox4_32_10E0_ZNS1_27distribution_nullary_kernelIS7_f15HIP_vector_typeIfLj4EES9_SL_SG_EEvSC_SI_RKT3_T4_EUlifE0_EEvlNS_15PhiloxCudaStateESH_SI_
		.amdhsa_group_segment_fixed_size 0
		.amdhsa_private_segment_fixed_size 0
		.amdhsa_kernarg_size 584
		.amdhsa_user_sgpr_count 2
		.amdhsa_user_sgpr_dispatch_ptr 0
		.amdhsa_user_sgpr_queue_ptr 0
		.amdhsa_user_sgpr_kernarg_segment_ptr 1
		.amdhsa_user_sgpr_dispatch_id 0
		.amdhsa_user_sgpr_kernarg_preload_length 0
		.amdhsa_user_sgpr_kernarg_preload_offset 0
		.amdhsa_user_sgpr_private_segment_size 0
		.amdhsa_uses_dynamic_stack 0
		.amdhsa_enable_private_segment 0
		.amdhsa_system_sgpr_workgroup_id_x 1
		.amdhsa_system_sgpr_workgroup_id_y 0
		.amdhsa_system_sgpr_workgroup_id_z 0
		.amdhsa_system_sgpr_workgroup_info 0
		.amdhsa_system_vgpr_workitem_id 0
		.amdhsa_next_free_vgpr 54
		.amdhsa_next_free_sgpr 77
		.amdhsa_accum_offset 56
		.amdhsa_reserve_vcc 1
		.amdhsa_float_round_mode_32 0
		.amdhsa_float_round_mode_16_64 0
		.amdhsa_float_denorm_mode_32 3
		.amdhsa_float_denorm_mode_16_64 3
		.amdhsa_dx10_clamp 1
		.amdhsa_ieee_mode 1
		.amdhsa_fp16_overflow 0
		.amdhsa_tg_split 0
		.amdhsa_exception_fp_ieee_invalid_op 0
		.amdhsa_exception_fp_denorm_src 0
		.amdhsa_exception_fp_ieee_div_zero 0
		.amdhsa_exception_fp_ieee_overflow 0
		.amdhsa_exception_fp_ieee_underflow 0
		.amdhsa_exception_fp_ieee_inexact 0
		.amdhsa_exception_int_div_zero 0
	.end_amdhsa_kernel
	.section	.text._ZN2at6native12_GLOBAL__N_143distribution_elementwise_grid_stride_kernelIfLi4EZNS0_9templates4cuda20normal_and_transformIN3c104HalfEfPNS_17CUDAGeneratorImplEZZZNS4_17log_normal_kernelIS9_EEvRNS_18TensorIteratorBaseEddT_ENKUlvE_clEvENKUlvE1_clEvEUlfE_EEvSC_T1_T2_EUlP25hiprandStatePhilox4_32_10E0_ZNS1_27distribution_nullary_kernelIS7_f15HIP_vector_typeIfLj4EES9_SL_SG_EEvSC_SI_RKT3_T4_EUlifE0_EEvlNS_15PhiloxCudaStateESH_SI_,"axG",@progbits,_ZN2at6native12_GLOBAL__N_143distribution_elementwise_grid_stride_kernelIfLi4EZNS0_9templates4cuda20normal_and_transformIN3c104HalfEfPNS_17CUDAGeneratorImplEZZZNS4_17log_normal_kernelIS9_EEvRNS_18TensorIteratorBaseEddT_ENKUlvE_clEvENKUlvE1_clEvEUlfE_EEvSC_T1_T2_EUlP25hiprandStatePhilox4_32_10E0_ZNS1_27distribution_nullary_kernelIS7_f15HIP_vector_typeIfLj4EES9_SL_SG_EEvSC_SI_RKT3_T4_EUlifE0_EEvlNS_15PhiloxCudaStateESH_SI_,comdat
.Lfunc_end11:
	.size	_ZN2at6native12_GLOBAL__N_143distribution_elementwise_grid_stride_kernelIfLi4EZNS0_9templates4cuda20normal_and_transformIN3c104HalfEfPNS_17CUDAGeneratorImplEZZZNS4_17log_normal_kernelIS9_EEvRNS_18TensorIteratorBaseEddT_ENKUlvE_clEvENKUlvE1_clEvEUlfE_EEvSC_T1_T2_EUlP25hiprandStatePhilox4_32_10E0_ZNS1_27distribution_nullary_kernelIS7_f15HIP_vector_typeIfLj4EES9_SL_SG_EEvSC_SI_RKT3_T4_EUlifE0_EEvlNS_15PhiloxCudaStateESH_SI_, .Lfunc_end11-_ZN2at6native12_GLOBAL__N_143distribution_elementwise_grid_stride_kernelIfLi4EZNS0_9templates4cuda20normal_and_transformIN3c104HalfEfPNS_17CUDAGeneratorImplEZZZNS4_17log_normal_kernelIS9_EEvRNS_18TensorIteratorBaseEddT_ENKUlvE_clEvENKUlvE1_clEvEUlfE_EEvSC_T1_T2_EUlP25hiprandStatePhilox4_32_10E0_ZNS1_27distribution_nullary_kernelIS7_f15HIP_vector_typeIfLj4EES9_SL_SG_EEvSC_SI_RKT3_T4_EUlifE0_EEvlNS_15PhiloxCudaStateESH_SI_
                                        ; -- End function
	.section	.AMDGPU.csdata,"",@progbits
; Kernel info:
; codeLenInByte = 5340
; NumSgprs: 83
; NumVgprs: 54
; NumAgprs: 0
; TotalNumVgprs: 54
; ScratchSize: 0
; MemoryBound: 0
; FloatMode: 240
; IeeeMode: 1
; LDSByteSize: 0 bytes/workgroup (compile time only)
; SGPRBlocks: 10
; VGPRBlocks: 6
; NumSGPRsForWavesPerEU: 83
; NumVGPRsForWavesPerEU: 54
; AccumOffset: 56
; Occupancy: 8
; WaveLimiterHint : 1
; COMPUTE_PGM_RSRC2:SCRATCH_EN: 0
; COMPUTE_PGM_RSRC2:USER_SGPR: 2
; COMPUTE_PGM_RSRC2:TRAP_HANDLER: 0
; COMPUTE_PGM_RSRC2:TGID_X_EN: 1
; COMPUTE_PGM_RSRC2:TGID_Y_EN: 0
; COMPUTE_PGM_RSRC2:TGID_Z_EN: 0
; COMPUTE_PGM_RSRC2:TIDIG_COMP_CNT: 0
; COMPUTE_PGM_RSRC3_GFX90A:ACCUM_OFFSET: 13
; COMPUTE_PGM_RSRC3_GFX90A:TG_SPLIT: 0
	.section	.text._ZN2at6native12_GLOBAL__N_143distribution_elementwise_grid_stride_kernelIfLi4EZNS0_9templates4cuda20normal_and_transformIN3c108BFloat16EfPNS_17CUDAGeneratorImplEZZZNS4_17log_normal_kernelIS9_EEvRNS_18TensorIteratorBaseEddT_ENKUlvE_clEvENKUlvE2_clEvEUlfE_EEvSC_T1_T2_EUlP25hiprandStatePhilox4_32_10E_ZNS1_27distribution_nullary_kernelIS7_f15HIP_vector_typeIdLj2EES9_SL_SG_EEvSC_SI_RKT3_T4_EUlifE_EEvlNS_15PhiloxCudaStateESH_SI_,"axG",@progbits,_ZN2at6native12_GLOBAL__N_143distribution_elementwise_grid_stride_kernelIfLi4EZNS0_9templates4cuda20normal_and_transformIN3c108BFloat16EfPNS_17CUDAGeneratorImplEZZZNS4_17log_normal_kernelIS9_EEvRNS_18TensorIteratorBaseEddT_ENKUlvE_clEvENKUlvE2_clEvEUlfE_EEvSC_T1_T2_EUlP25hiprandStatePhilox4_32_10E_ZNS1_27distribution_nullary_kernelIS7_f15HIP_vector_typeIdLj2EES9_SL_SG_EEvSC_SI_RKT3_T4_EUlifE_EEvlNS_15PhiloxCudaStateESH_SI_,comdat
	.globl	_ZN2at6native12_GLOBAL__N_143distribution_elementwise_grid_stride_kernelIfLi4EZNS0_9templates4cuda20normal_and_transformIN3c108BFloat16EfPNS_17CUDAGeneratorImplEZZZNS4_17log_normal_kernelIS9_EEvRNS_18TensorIteratorBaseEddT_ENKUlvE_clEvENKUlvE2_clEvEUlfE_EEvSC_T1_T2_EUlP25hiprandStatePhilox4_32_10E_ZNS1_27distribution_nullary_kernelIS7_f15HIP_vector_typeIdLj2EES9_SL_SG_EEvSC_SI_RKT3_T4_EUlifE_EEvlNS_15PhiloxCudaStateESH_SI_ ; -- Begin function _ZN2at6native12_GLOBAL__N_143distribution_elementwise_grid_stride_kernelIfLi4EZNS0_9templates4cuda20normal_and_transformIN3c108BFloat16EfPNS_17CUDAGeneratorImplEZZZNS4_17log_normal_kernelIS9_EEvRNS_18TensorIteratorBaseEddT_ENKUlvE_clEvENKUlvE2_clEvEUlfE_EEvSC_T1_T2_EUlP25hiprandStatePhilox4_32_10E_ZNS1_27distribution_nullary_kernelIS7_f15HIP_vector_typeIdLj2EES9_SL_SG_EEvSC_SI_RKT3_T4_EUlifE_EEvlNS_15PhiloxCudaStateESH_SI_
	.p2align	8
	.type	_ZN2at6native12_GLOBAL__N_143distribution_elementwise_grid_stride_kernelIfLi4EZNS0_9templates4cuda20normal_and_transformIN3c108BFloat16EfPNS_17CUDAGeneratorImplEZZZNS4_17log_normal_kernelIS9_EEvRNS_18TensorIteratorBaseEddT_ENKUlvE_clEvENKUlvE2_clEvEUlfE_EEvSC_T1_T2_EUlP25hiprandStatePhilox4_32_10E_ZNS1_27distribution_nullary_kernelIS7_f15HIP_vector_typeIdLj2EES9_SL_SG_EEvSC_SI_RKT3_T4_EUlifE_EEvlNS_15PhiloxCudaStateESH_SI_,@function
_ZN2at6native12_GLOBAL__N_143distribution_elementwise_grid_stride_kernelIfLi4EZNS0_9templates4cuda20normal_and_transformIN3c108BFloat16EfPNS_17CUDAGeneratorImplEZZZNS4_17log_normal_kernelIS9_EEvRNS_18TensorIteratorBaseEddT_ENKUlvE_clEvENKUlvE2_clEvEUlfE_EEvSC_T1_T2_EUlP25hiprandStatePhilox4_32_10E_ZNS1_27distribution_nullary_kernelIS7_f15HIP_vector_typeIdLj2EES9_SL_SG_EEvSC_SI_RKT3_T4_EUlifE_EEvlNS_15PhiloxCudaStateESH_SI_: ; @_ZN2at6native12_GLOBAL__N_143distribution_elementwise_grid_stride_kernelIfLi4EZNS0_9templates4cuda20normal_and_transformIN3c108BFloat16EfPNS_17CUDAGeneratorImplEZZZNS4_17log_normal_kernelIS9_EEvRNS_18TensorIteratorBaseEddT_ENKUlvE_clEvENKUlvE2_clEvEUlfE_EEvSC_T1_T2_EUlP25hiprandStatePhilox4_32_10E_ZNS1_27distribution_nullary_kernelIS7_f15HIP_vector_typeIdLj2EES9_SL_SG_EEvSC_SI_RKT3_T4_EUlifE_EEvlNS_15PhiloxCudaStateESH_SI_
; %bb.0:
	s_load_dword s3, s[0:1], 0x20
	s_load_dwordx2 s[8:9], s[0:1], 0x10
	s_load_dwordx4 s[4:7], s[0:1], 0x0
	s_mov_b32 s13, 0
	s_waitcnt lgkmcnt(0)
	s_bitcmp0_b32 s3, 0
	v_mov_b64_e32 v[2:3], s[8:9]
	v_mov_b64_e32 v[12:13], s[6:7]
	s_cbranch_scc1 .LBB12_2
; %bb.1:
	v_mov_b64_e32 v[4:5], s[8:9]
	v_mov_b64_e32 v[2:3], s[6:7]
	flat_load_dwordx2 v[6:7], v[4:5]
	flat_load_dwordx2 v[12:13], v[2:3]
	s_load_dwordx2 s[6:7], s[0:1], 0x18
	s_waitcnt vmcnt(0) lgkmcnt(0)
	v_lshl_add_u64 v[2:3], v[6:7], 0, s[6:7]
.LBB12_2:
	s_load_dword s3, s[0:1], 0x54
	s_load_dword s22, s[0:1], 0x48
	s_mov_b32 s10, s13
	s_mov_b64 s[8:9], -1
	s_waitcnt lgkmcnt(0)
	s_and_b32 s3, s3, 0xffff
	s_add_u32 s7, s4, -1
	s_mul_i32 s6, s22, s3
	s_addc_u32 s11, s5, -1
	s_lshl_b32 s12, s6, 2
	s_cmp_lg_u64 s[10:11], 0
	s_cbranch_scc0 .LBB12_27
; %bb.3:
	v_cvt_f32_u32_e32 v1, s12
	v_cvt_f32_ubyte0_e32 v4, 0
	s_sub_u32 s10, 0, s12
	s_subb_u32 s14, 0, 0
	v_fmamk_f32 v1, v4, 0x4f800000, v1
	v_rcp_f32_e32 v1, v1
	s_nop 0
	v_mul_f32_e32 v1, 0x5f7ffffc, v1
	v_mul_f32_e32 v4, 0x2f800000, v1
	v_trunc_f32_e32 v4, v4
	v_fmamk_f32 v1, v4, 0xcf800000, v1
	v_cvt_u32_f32_e32 v4, v4
	v_cvt_u32_f32_e32 v1, v1
	v_readfirstlane_b32 s15, v4
	v_readfirstlane_b32 s16, v1
	s_mul_i32 s17, s10, s15
	s_mul_hi_u32 s19, s10, s16
	s_mul_i32 s18, s14, s16
	s_add_i32 s17, s19, s17
	s_add_i32 s17, s17, s18
	s_mul_i32 s20, s10, s16
	s_mul_hi_u32 s18, s16, s17
	s_mul_i32 s19, s16, s17
	s_mul_hi_u32 s16, s16, s20
	s_add_u32 s16, s16, s19
	s_addc_u32 s18, 0, s18
	s_mul_hi_u32 s21, s15, s20
	s_mul_i32 s20, s15, s20
	s_add_u32 s16, s16, s20
	s_mul_hi_u32 s19, s15, s17
	s_addc_u32 s16, s18, s21
	s_addc_u32 s18, s19, 0
	s_mul_i32 s17, s15, s17
	s_add_u32 s16, s16, s17
	s_addc_u32 s17, 0, s18
	v_add_co_u32_e32 v1, vcc, s16, v1
	s_cmp_lg_u64 vcc, 0
	s_addc_u32 s15, s15, s17
	v_readfirstlane_b32 s17, v1
	s_mul_i32 s16, s10, s15
	s_mul_hi_u32 s18, s10, s17
	s_add_i32 s16, s18, s16
	s_mul_i32 s14, s14, s17
	s_add_i32 s16, s16, s14
	s_mul_i32 s10, s10, s17
	s_mul_hi_u32 s18, s15, s10
	s_mul_i32 s19, s15, s10
	s_mul_i32 s21, s17, s16
	s_mul_hi_u32 s10, s17, s10
	s_mul_hi_u32 s20, s17, s16
	s_add_u32 s10, s10, s21
	s_addc_u32 s17, 0, s20
	s_add_u32 s10, s10, s19
	s_mul_hi_u32 s14, s15, s16
	s_addc_u32 s10, s17, s18
	s_addc_u32 s14, s14, 0
	s_mul_i32 s16, s15, s16
	s_add_u32 s10, s10, s16
	s_addc_u32 s14, 0, s14
	v_add_co_u32_e32 v1, vcc, s10, v1
	s_cmp_lg_u64 vcc, 0
	s_addc_u32 s16, s15, s14
	s_ashr_i32 s14, s11, 31
	s_add_u32 s10, s7, s14
	s_mov_b32 s15, s14
	s_addc_u32 s11, s11, s14
	s_xor_b64 s[10:11], s[10:11], s[14:15]
	v_readfirstlane_b32 s19, v1
	s_mul_i32 s18, s10, s16
	s_mul_hi_u32 s20, s10, s19
	s_mul_hi_u32 s17, s10, s16
	s_add_u32 s18, s20, s18
	s_addc_u32 s17, 0, s17
	s_mul_hi_u32 s21, s11, s19
	s_mul_i32 s19, s11, s19
	s_add_u32 s18, s18, s19
	s_mul_hi_u32 s20, s11, s16
	s_addc_u32 s17, s17, s21
	s_addc_u32 s18, s20, 0
	s_mul_i32 s16, s11, s16
	s_add_u32 s16, s17, s16
	s_addc_u32 s17, 0, s18
	s_add_u32 s18, s16, 1
	s_addc_u32 s19, s17, 0
	s_add_u32 s20, s16, 2
	s_mul_i32 s23, s12, s17
	s_mul_hi_u32 s24, s12, s16
	s_addc_u32 s21, s17, 0
	s_add_i32 s24, s24, s23
	s_mul_i32 s23, s12, s16
	v_mov_b32_e32 v1, s23
	v_sub_co_u32_e32 v1, vcc, s10, v1
	s_cmp_lg_u64 vcc, 0
	s_subb_u32 s10, s11, s24
	v_subrev_co_u32_e32 v4, vcc, s12, v1
	s_cmp_lg_u64 vcc, 0
	s_subb_u32 s11, s10, 0
	v_readfirstlane_b32 s23, v4
	s_cmp_ge_u32 s23, s12
	s_cselect_b32 s23, -1, 0
	s_cmp_eq_u32 s11, 0
	s_cselect_b32 s11, s23, -1
	s_cmp_lg_u32 s11, 0
	s_cselect_b32 s11, s21, s19
	v_readfirstlane_b32 s19, v1
	s_cselect_b32 s18, s20, s18
	s_cmp_ge_u32 s19, s12
	s_cselect_b32 s19, -1, 0
	s_cmp_eq_u32 s10, 0
	s_cselect_b32 s10, s19, -1
	s_cmp_lg_u32 s10, 0
	s_cselect_b32 s11, s11, s17
	s_cselect_b32 s10, s18, s16
	s_xor_b64 s[10:11], s[10:11], s[14:15]
	s_sub_u32 s10, s10, s14
	s_subb_u32 s11, s11, s14
	s_cbranch_execnz .LBB12_5
.LBB12_4:
	v_cvt_f32_u32_e32 v1, s12
	s_sub_i32 s8, 0, s12
	s_mov_b32 s11, 0
	v_rcp_iflag_f32_e32 v1, v1
	s_nop 0
	v_mul_f32_e32 v1, 0x4f7ffffe, v1
	v_cvt_u32_f32_e32 v1, v1
	s_nop 0
	v_readfirstlane_b32 s9, v1
	s_mul_i32 s8, s8, s9
	s_mul_hi_u32 s8, s9, s8
	s_add_i32 s9, s9, s8
	s_mul_hi_u32 s8, s7, s9
	s_mul_i32 s10, s8, s12
	s_sub_i32 s7, s7, s10
	s_add_i32 s9, s8, 1
	s_sub_i32 s10, s7, s12
	s_cmp_ge_u32 s7, s12
	s_cselect_b32 s8, s9, s8
	s_cselect_b32 s7, s10, s7
	s_add_i32 s9, s8, 1
	s_cmp_ge_u32 s7, s12
	s_cselect_b32 s10, s9, s8
.LBB12_5:
	v_mov_b32_e32 v1, 0
	v_mov_b32_e32 v4, s2
	v_mad_u64_u32 v[14:15], s[8:9], s3, v4, v[0:1]
	s_add_u32 s7, s10, 1
	s_addc_u32 s8, s11, 0
	s_mul_hi_u32 s9, s22, s3
	s_mul_i32 s8, s6, s8
	s_mul_hi_u32 s10, s6, s7
	s_add_i32 s8, s10, s8
	s_mul_i32 s9, s9, s7
	s_add_i32 s9, s8, s9
	s_mul_i32 s8, s6, s7
	s_lshl_b64 s[14:15], s[8:9], 2
	v_cmp_gt_i64_e32 vcc, s[14:15], v[14:15]
	s_and_saveexec_b64 s[8:9], vcc
	s_cbranch_execz .LBB12_26
; %bb.6:
	s_load_dwordx4 s[8:11], s[0:1], 0x38
	s_load_dwordx2 s[16:17], s[0:1], 0x30
	v_mov_b32_e32 v4, v13
	v_mov_b32_e32 v5, v1
	s_mov_b64 s[0:1], 0xdb3d7428
	v_lshl_add_u64 v[16:17], v[4:5], 0, s[0:1]
	s_mov_b64 s[0:1], 0x5384540f
	v_lshl_add_u64 v[18:19], v[12:13], 0, s[0:1]
	;; [unrolled: 2-line block ×7, first 2 shown]
	s_mov_b64 s[0:1], 0x9e3779b9
	v_alignbit_b32 v17, v3, v2, 2
	s_waitcnt lgkmcnt(0)
	s_mov_b32 s11, 0xd2511f53
	v_lshl_add_u64 v[30:31], v[12:13], 0, s[0:1]
	v_mad_u64_u32 v[6:7], s[0:1], v17, s11, 0
	v_and_b32_e32 v86, 3, v2
	v_xor_b32_e32 v2, v7, v13
	v_xor_b32_e32 v2, v2, v15
	s_mov_b32 s33, 0xcd9e8d57
	v_mad_u64_u32 v[8:9], s[0:1], v2, s33, 0
	v_xor_b32_e32 v2, v30, v9
	v_mad_u64_u32 v[10:11], s[0:1], v14, s33, 0
	v_xor_b32_e32 v2, v2, v10
	;; [unrolled: 2-line block ×3, first 2 shown]
	v_lshrrev_b32_e32 v19, 2, v3
	v_xor_b32_e32 v2, v2, v19
	v_xor_b32_e32 v7, v28, v39
	v_mad_u64_u32 v[2:3], s[0:1], v2, s11, 0
	v_xor_b32_e32 v2, v7, v2
	v_mad_u64_u32 v[10:11], s[0:1], v2, s33, 0
	s_mov_b64 s[0:1], 0xbb67ae85
	s_nop 0
	v_lshl_add_u64 v[32:33], v[4:5], 0, s[0:1]
	v_xor_b32_e32 v2, v32, v3
	v_xor_b32_e32 v2, v2, v6
	v_xor_b32_e32 v7, v26, v11
	v_mad_u64_u32 v[2:3], s[0:1], v2, s33, 0
	v_xor_b32_e32 v2, v7, v2
	v_mad_u64_u32 v[6:7], s[0:1], v2, s11, 0
	s_mov_b64 s[0:1], 0x3c6ef372
	s_nop 0
	v_lshl_add_u64 v[34:35], v[12:13], 0, s[0:1]
	v_xor_b32_e32 v2, v34, v3
	;; [unrolled: 9-line block ×7, first 2 shown]
	v_xor_b32_e32 v2, v2, v46
	v_mad_u64_u32 v[2:3], s[0:1], v2, s33, 0
	s_mov_b64 s[0:1], 0xf1bbcdc8
	v_add_u32_e32 v87, 0x8ff34781, v12
	v_xor_b32_e32 v2, v51, v2
	v_lshl_add_u64 v[46:47], v[12:13], 0, s[0:1]
	v_xor_b32_e32 v6, v87, v2
	v_xor_b32_e32 v2, v46, v3
	;; [unrolled: 1-line block ×3, first 2 shown]
	v_mad_u64_u32 v[2:3], s[0:1], v2, s11, 0
	v_add_u32_e32 v88, 0x96a522ad, v13
	v_xor_b32_e32 v3, v3, v48
	v_xor_b32_e32 v8, v88, v3
	v_mov_b32_e32 v9, v2
	v_mov_b32_e32 v2, 0xffc00000
	v_mov_b32_e32 v3, 0x3fb8aa3b
	v_fmac_f32_e32 v2, s0, v3
	v_mov_b32_e32 v3, 0x32a5705f
	v_fmac_f32_e32 v2, s0, v3
	v_rndne_f32_e32 v3, 0x7fc00000
	v_sub_f32_e32 v4, 0x7fc00000, v3
	v_add_f32_e32 v2, v4, v2
	v_exp_f32_e32 v2, v2
	v_cvt_i32_f32_e32 v3, v3
	s_mul_i32 s0, s2, s3
	s_mov_b32 s7, 0
	s_mov_b32 s24, 0x55555555
	v_ldexp_f32 v2, v2, v3
	v_bfe_u32 v3, v2, 16, 1
	v_add_u32_e32 v2, v2, v3
	v_add_u32_e32 v2, 0x7fff, v2
	v_lshrrev_b32_e32 v21, 16, v2
	v_add_u32_e32 v2, s0, v0
	s_mul_i32 s0, s22, s8
	s_mul_i32 s0, s0, s3
	s_lshl_b32 s48, s0, 2
	s_mul_i32 s0, s22, 3
	s_add_i32 s0, s2, s0
	s_mul_i32 s0, s0, s3
	v_mul_lo_u32 v23, s8, v2
	v_add_u32_e32 v2, s0, v0
	s_lshl_b32 s0, s22, 1
	s_add_i32 s0, s2, s0
	s_mul_i32 s0, s0, s3
	v_mul_lo_u32 v25, s8, v2
	v_add_u32_e32 v2, s0, v0
	s_add_i32 s0, s2, s22
	s_mul_i32 s0, s0, s3
	v_add_u32_e32 v0, s0, v0
	s_mov_b32 s26, 0xbf559e2b
	s_mov_b32 s28, 0xfefa39ef
	;; [unrolled: 1-line block ×8, first 2 shown]
	v_mov_b32_e32 v7, v50
	s_lshl_b32 s18, s6, 1
	s_mov_b32 s19, s7
	s_mov_b32 s46, 0x3fb8aa3b
	s_movk_i32 s47, 0x7fff
	s_mul_i32 s20, s6, 3
	s_mov_b32 s21, s7
	v_mul_lo_u32 v27, s8, v2
	v_mul_lo_u32 v29, s8, v0
	s_mov_b64 s[22:23], 0
	s_mov_b32 s25, 0x3fe55555
	s_mov_b32 s27, 0x3fc3ab76
	;; [unrolled: 1-line block ×5, first 2 shown]
	s_brev_b32 s37, 8
	s_mov_b32 s39, 0x3f3e357e
	s_mov_b32 s41, 0x400921fb
	s_mov_b32 s43, 0xbf1b1673
	s_mov_b32 s8, 0xc2ce8ed0
	s_mov_b32 s49, 0x42b17218
	v_mov_b32_e32 v48, 0x6b47b09a
	v_mov_b32_e32 v49, 0x3fc38538
	;; [unrolled: 1-line block ×34, first 2 shown]
	s_mov_b32 s50, s7
	v_mov_b32_e32 v31, 0x260
	v_mov_b32_e32 v33, 0x3ff00000
	;; [unrolled: 1-line block ×9, first 2 shown]
	s_branch .LBB12_8
.LBB12_7:                               ;   in Loop: Header=BB12_8 Depth=1
	s_or_b64 exec, exec, s[0:1]
	v_mov_b32_e32 v5, v82
	v_lshl_add_u64 v[14:15], v[14:15], 0, s[12:13]
	s_add_i32 s50, s50, s48
	v_cmp_le_i64_e32 vcc, s[14:15], v[14:15]
	v_mov_b64_e32 v[8:9], v[4:5]
	s_or_b64 s[22:23], vcc, s[22:23]
	v_mov_b64_e32 v[6:7], v[2:3]
	s_barrier
	s_andn2_b64 exec, exec, s[22:23]
	s_cbranch_execz .LBB12_26
.LBB12_8:                               ; =>This Inner Loop Header: Depth=1
	v_add_co_u32_e32 v17, vcc, 1, v17
	v_mad_u64_u32 v[2:3], s[0:1], v17, s11, 0
	s_nop 0
	v_cndmask_b32_e64 v0, 0, 1, vcc
	v_addc_co_u32_e32 v19, vcc, 0, v19, vcc
	v_cmp_eq_u32_e32 vcc, 0, v19
	v_xor_b32_e32 v3, v3, v13
	s_nop 0
	v_cndmask_b32_e32 v0, 0, v0, vcc
	v_add_u32_e32 v45, v0, v45
	v_cmp_eq_u32_e32 vcc, 0, v45
	v_mad_u64_u32 v[4:5], s[0:1], v45, s33, 0
	s_nop 0
	v_cndmask_b32_e32 v0, 0, v0, vcc
	v_add_u32_e32 v47, v0, v47
	v_xor_b32_e32 v0, v5, v12
	v_xor_b32_e32 v0, v19, v0
	v_xor_b32_e32 v3, v47, v3
	v_mad_u64_u32 v[10:11], s[0:1], v0, s11, 0
	v_mad_u64_u32 v[82:83], s[0:1], v3, s33, 0
	v_xor_b32_e32 v0, v30, v83
	v_xor_b32_e32 v3, v32, v11
	v_xor_b32_e32 v0, v0, v4
	v_xor_b32_e32 v4, v3, v2
	v_mad_u64_u32 v[2:3], s[0:1], v0, s11, 0
	v_mad_u64_u32 v[4:5], s[0:1], v4, s33, 0
	v_xor_b32_e32 v0, v34, v5
	;; [unrolled: 6-line block ×9, first 2 shown]
	v_xor_b32_e32 v2, v87, v0
	v_xor_b32_e32 v0, v83, v4
	v_xor_b32_e32 v11, v88, v0
	v_mov_b32_e32 v3, v10
	v_mov_b32_e32 v4, v11
	v_cmp_lt_i32_e32 vcc, 1, v86
	s_and_saveexec_b64 s[0:1], vcc
	s_xor_b64 s[0:1], exec, s[0:1]
	s_cbranch_execz .LBB12_14
; %bb.9:                                ;   in Loop: Header=BB12_8 Depth=1
	v_cmp_lt_i32_e32 vcc, 2, v86
	s_and_saveexec_b64 s[2:3], vcc
	s_xor_b64 s[2:3], exec, s[2:3]
; %bb.10:                               ;   in Loop: Header=BB12_8 Depth=1
	v_mov_b32_e32 v8, v9
	v_mov_b32_e32 v9, v2
	v_mov_b64_e32 v[6:7], v[8:9]
	v_mov_b64_e32 v[8:9], v[10:11]
                                        ; implicit-def: $vgpr10_vgpr11
; %bb.11:                               ;   in Loop: Header=BB12_8 Depth=1
	s_andn2_saveexec_b64 s[2:3], s[2:3]
; %bb.12:                               ;   in Loop: Header=BB12_8 Depth=1
	v_mov_b32_e32 v6, v8
	v_mov_b32_e32 v7, v9
	;; [unrolled: 1-line block ×4, first 2 shown]
; %bb.13:                               ;   in Loop: Header=BB12_8 Depth=1
	s_or_b64 exec, exec, s[2:3]
.LBB12_14:                              ;   in Loop: Header=BB12_8 Depth=1
	s_andn2_saveexec_b64 s[0:1], s[0:1]
	s_cbranch_execz .LBB12_18
; %bb.15:                               ;   in Loop: Header=BB12_8 Depth=1
	v_cmp_eq_u32_e32 vcc, 1, v86
	s_and_saveexec_b64 s[2:3], vcc
; %bb.16:                               ;   in Loop: Header=BB12_8 Depth=1
	v_mov_b32_e32 v6, v7
	v_mov_b32_e32 v7, v8
	;; [unrolled: 1-line block ×4, first 2 shown]
; %bb.17:                               ;   in Loop: Header=BB12_8 Depth=1
	s_or_b64 exec, exec, s[2:3]
.LBB12_18:                              ;   in Loop: Header=BB12_8 Depth=1
	s_or_b64 exec, exec, s[0:1]
	v_mov_b32_e32 v0, v7
	v_lshlrev_b64 v[10:11], 21, v[0:1]
	v_xor_b32_e32 v0, v10, v6
	v_cvt_f64_u32_e32 v[6:7], v11
	v_ldexp_f64 v[6:7], v[6:7], 32
	v_cvt_f64_u32_e32 v[10:11], v0
	v_add_f64 v[6:7], v[6:7], v[10:11]
	v_mov_b32_e32 v10, 0
	v_mov_b32_e32 v11, 0x3ca00000
	v_fmac_f64_e32 v[10:11], 0x3ca00000, v[6:7]
	v_frexp_mant_f64_e32 v[84:85], v[10:11]
	v_cmp_gt_f64_e32 vcc, s[24:25], v[84:85]
	v_mov_b32_e32 v90, v1
	v_mov_b32_e32 v0, v9
	v_cndmask_b32_e64 v91, v33, 2.0, vcc
	v_mul_f64 v[84:85], v[84:85], v[90:91]
	v_add_f64 v[90:91], v[84:85], 1.0
	v_rcp_f64_e32 v[92:93], v[90:91]
	v_add_f64 v[96:97], v[90:91], -1.0
	v_add_f64 v[94:95], v[84:85], -1.0
	v_add_f64 v[84:85], v[84:85], -v[96:97]
	v_fma_f64 v[96:97], -v[90:91], v[92:93], 1.0
	v_fmac_f64_e32 v[92:93], v[96:97], v[92:93]
	v_fma_f64 v[96:97], -v[90:91], v[92:93], 1.0
	v_fmac_f64_e32 v[92:93], v[96:97], v[92:93]
	v_mul_f64 v[96:97], v[94:95], v[92:93]
	v_mul_f64 v[98:99], v[90:91], v[96:97]
	v_fma_f64 v[90:91], v[96:97], v[90:91], -v[98:99]
	v_fmac_f64_e32 v[90:91], v[96:97], v[84:85]
	v_add_f64 v[84:85], v[98:99], v[90:91]
	v_add_f64 v[100:101], v[94:95], -v[84:85]
	v_add_f64 v[98:99], v[84:85], -v[98:99]
	;; [unrolled: 1-line block ×5, first 2 shown]
	v_add_f64 v[84:85], v[90:91], v[84:85]
	v_add_f64 v[84:85], v[100:101], v[84:85]
	v_mul_f64 v[84:85], v[92:93], v[84:85]
	v_add_f64 v[90:91], v[96:97], v[84:85]
	v_add_f64 v[92:93], v[90:91], -v[96:97]
	v_add_f64 v[84:85], v[84:85], -v[92:93]
	v_mul_f64 v[92:93], v[90:91], v[90:91]
	v_mov_b64_e32 v[94:95], v[48:49]
	v_fmac_f64_e32 v[94:95], s[26:27], v[92:93]
	v_mov_b64_e32 v[96:97], v[50:51]
	v_fmac_f64_e32 v[96:97], v[92:93], v[94:95]
	;; [unrolled: 2-line block ×6, first 2 shown]
	v_ldexp_f64 v[94:95], v[90:91], 1
	v_mul_f64 v[90:91], v[90:91], v[92:93]
	v_mul_f64 v[90:91], v[90:91], v[96:97]
	v_add_f64 v[92:93], v[94:95], v[90:91]
	v_add_f64 v[94:95], v[92:93], -v[94:95]
	v_lshlrev_b64 v[6:7], 21, v[0:1]
	v_ldexp_f64 v[84:85], v[84:85], 1
	v_add_f64 v[90:91], v[90:91], -v[94:95]
	v_xor_b32_e32 v0, v6, v8
	v_add_f64 v[84:85], v[84:85], v[90:91]
	v_cvt_f64_u32_e32 v[8:9], v0
	v_frexp_exp_i32_f64_e32 v0, v[10:11]
	v_add_f64 v[90:91], v[92:93], v[84:85]
	v_subbrev_co_u32_e32 v0, vcc, 0, v0, vcc
	v_add_f64 v[92:93], v[90:91], -v[92:93]
	v_add_f64 v[84:85], v[84:85], -v[92:93]
	v_cvt_f64_i32_e32 v[92:93], v0
	v_mul_f64 v[94:95], v[92:93], s[28:29]
	v_fma_f64 v[96:97], v[92:93], s[28:29], -v[94:95]
	v_fmac_f64_e32 v[96:97], s[30:31], v[92:93]
	v_add_f64 v[92:93], v[94:95], v[96:97]
	v_add_f64 v[94:95], v[92:93], -v[94:95]
	v_add_f64 v[94:95], v[96:97], -v[94:95]
	v_add_f64 v[96:97], v[92:93], v[90:91]
	v_add_f64 v[98:99], v[96:97], -v[92:93]
	v_add_f64 v[100:101], v[96:97], -v[98:99]
	;; [unrolled: 1-line block ×4, first 2 shown]
	v_add_f64 v[90:91], v[90:91], v[92:93]
	v_add_f64 v[92:93], v[94:95], v[84:85]
	v_add_f64 v[98:99], v[92:93], -v[94:95]
	v_add_f64 v[100:101], v[92:93], -v[98:99]
	v_add_f64 v[90:91], v[92:93], v[90:91]
	v_add_f64 v[94:95], v[94:95], -v[100:101]
	v_add_f64 v[84:85], v[84:85], -v[98:99]
	v_add_f64 v[92:93], v[96:97], v[90:91]
	v_add_f64 v[84:85], v[84:85], v[94:95]
	v_add_f64 v[94:95], v[92:93], -v[96:97]
	v_add_f64 v[90:91], v[90:91], -v[94:95]
	v_add_f64 v[84:85], v[84:85], v[90:91]
	v_add_f64 v[84:85], v[92:93], v[84:85]
	v_cmp_eq_f64_e32 vcc, s[34:35], v[10:11]
	v_cvt_f64_u32_e32 v[6:7], v7
	v_ldexp_f64 v[6:7], v[6:7], 32
	v_cndmask_b32_e32 v85, v85, v11, vcc
	v_cndmask_b32_e32 v84, v84, v10, vcc
	v_mul_f64 v[84:85], v[84:85], -2.0
	v_cmp_neq_f64_e32 vcc, 0, v[10:11]
	v_add_f64 v[6:7], v[6:7], v[8:9]
	v_mov_b32_e32 v8, 0
	v_cndmask_b32_e32 v11, v35, v85, vcc
	v_cndmask_b32_e32 v10, 0, v84, vcc
	v_cmp_gt_f64_e32 vcc, s[36:37], v[10:11]
	v_mov_b32_e32 v9, 0x3cb00000
	v_fmac_f64_e32 v[8:9], 0x3cb00000, v[6:7]
	v_cndmask_b32_e64 v0, 0, 1, vcc
	v_lshlrev_b32_e32 v0, 8, v0
	v_ldexp_f64 v[10:11], v[10:11], v0
	v_rsq_f64_e32 v[84:85], v[10:11]
	v_cndmask_b32_e32 v0, 0, v37, vcc
	v_cmp_class_f64_e32 vcc, v[10:11], v31
	v_cmp_gt_i64_e64 s[2:3], s[4:5], v[14:15]
	v_mul_f64 v[6:7], v[10:11], v[84:85]
	v_mul_f64 v[84:85], v[84:85], 0.5
	v_fma_f64 v[90:91], -v[84:85], v[6:7], 0.5
	v_fmac_f64_e32 v[6:7], v[6:7], v[90:91]
	v_fma_f64 v[92:93], -v[6:7], v[6:7], v[10:11]
	v_fmac_f64_e32 v[84:85], v[84:85], v[90:91]
	v_fmac_f64_e32 v[6:7], v[92:93], v[84:85]
	v_fma_f64 v[90:91], -v[6:7], v[6:7], v[10:11]
	v_fmac_f64_e32 v[6:7], v[90:91], v[84:85]
	v_ldexp_f64 v[6:7], v[6:7], v0
	v_cndmask_b32_e32 v7, v7, v11, vcc
	v_cndmask_b32_e32 v6, v6, v10, vcc
	v_mul_f64 v[10:11], v[8:9], 0.5
	v_fract_f64_e32 v[84:85], v[10:11]
	v_add_f64 v[84:85], v[84:85], v[84:85]
	v_cmp_neq_f64_e32 vcc, s[34:35], v[10:11]
	v_mov_b64_e32 v[92:93], v[62:63]
	s_nop 0
	v_cndmask_b32_e32 v0, 0, v84, vcc
	v_cndmask_b32_e32 v5, 0, v85, vcc
	v_cmp_lt_f64_e32 vcc, 1.0, v[8:9]
	s_nop 1
	v_cndmask_b32_e32 v85, v9, v5, vcc
	v_cndmask_b32_e32 v84, v8, v0, vcc
	v_add_f64 v[10:11], v[84:85], v[84:85]
	v_rndne_f64_e32 v[10:11], v[10:11]
	v_fmac_f64_e32 v[84:85], -0.5, v[10:11]
	v_cvt_i32_f64_e32 v5, v[10:11]
	v_mul_f64 v[90:91], v[84:85], v[84:85]
	v_mov_b64_e32 v[10:11], v[60:61]
	v_fmac_f64_e32 v[10:11], s[38:39], v[90:91]
	v_fmac_f64_e32 v[92:93], v[90:91], v[10:11]
	v_mov_b64_e32 v[10:11], v[64:65]
	v_fmac_f64_e32 v[10:11], v[90:91], v[92:93]
	v_mov_b64_e32 v[92:93], v[66:67]
	;; [unrolled: 2-line block ×3, first 2 shown]
	v_fmac_f64_e32 v[10:11], v[90:91], v[92:93]
	v_mul_f64 v[92:93], v[84:85], v[90:91]
	v_mul_f64 v[10:11], v[92:93], v[10:11]
	v_fmac_f64_e32 v[10:11], s[40:41], v[84:85]
	v_mov_b64_e32 v[84:85], v[70:71]
	v_fmac_f64_e32 v[84:85], s[42:43], v[90:91]
	v_mov_b64_e32 v[92:93], v[72:73]
	;; [unrolled: 2-line block ×6, first 2 shown]
	v_fmac_f64_e32 v[92:93], v[90:91], v[84:85]
	v_lshlrev_b32_e32 v0, 30, v5
	v_and_b32_e32 v5, 1, v5
	v_fma_f64 v[84:85], v[90:91], v[92:93], 1.0
	v_cmp_eq_u32_e64 s[0:1], 0, v5
	v_cmp_lg_f64_e32 vcc, s[34:35], v[8:9]
	s_and_saveexec_b64 s[44:45], s[2:3]
	s_cbranch_execz .LBB12_20
; %bb.19:                               ;   in Loop: Header=BB12_8 Depth=1
	v_xor_b32_e32 v9, v0, v9
	v_cndmask_b32_e64 v8, v85, v11, s[0:1]
	v_and_b32_e32 v9, 0x80000000, v9
	v_cndmask_b32_e64 v5, v84, v10, s[0:1]
	v_xor_b32_e32 v9, v8, v9
	v_cndmask_b32_e32 v8, 0, v5, vcc
	v_cndmask_b32_e32 v9, v39, v9, vcc
	v_mul_f64 v[8:9], v[6:7], v[8:9]
	v_cvt_f32_f64_e32 v5, v[8:9]
	v_mov_b32_e32 v8, s9
	v_fma_f32 v5, s10, v5, v8
	v_mul_f32_e32 v8, 0x3fb8aa3b, v5
	v_fma_f32 v9, v5, s46, -v8
	v_rndne_f32_e32 v83, v8
	v_fmac_f32_e32 v9, 0x32a5705f, v5
	v_sub_f32_e32 v8, v8, v83
	v_add_f32_e32 v8, v8, v9
	v_exp_f32_e32 v89, v8
	v_cvt_i32_f32_e32 v83, v83
	v_cmp_ngt_f32_e64 s[2:3], s8, v5
	v_add_u32_e32 v8, s50, v23
	v_ashrrev_i32_e32 v9, 31, v8
	v_ldexp_f32 v83, v89, v83
	v_cndmask_b32_e64 v83, 0, v83, s[2:3]
	v_cmp_nlt_f32_e64 s[2:3], s49, v5
	v_lshl_add_u64 v[8:9], s[16:17], 0, v[8:9]
	s_nop 0
	v_cndmask_b32_e64 v5, v41, v83, s[2:3]
	v_bfe_u32 v83, v5, 16, 1
	v_add3_u32 v83, v5, v83, s47
	v_lshrrev_b32_e32 v83, 16, v83
	v_cmp_o_f32_e64 s[2:3], v5, v5
	s_nop 1
	v_cndmask_b32_e64 v5, v43, v83, s[2:3]
	global_store_short v[8:9], v5, off
.LBB12_20:                              ;   in Loop: Header=BB12_8 Depth=1
	s_or_b64 exec, exec, s[44:45]
	v_lshl_add_u64 v[8:9], s[6:7], 0, v[14:15]
	v_cmp_gt_i64_e64 s[2:3], s[4:5], v[8:9]
	s_and_saveexec_b64 s[44:45], s[2:3]
	s_cbranch_execz .LBB12_22
; %bb.21:                               ;   in Loop: Header=BB12_8 Depth=1
	v_xor_b32_e32 v5, 0x80000000, v11
	v_and_b32_e32 v0, 0x80000000, v0
	v_cndmask_b32_e64 v5, v5, v85, s[0:1]
	v_cndmask_b32_e64 v8, v10, v84, s[0:1]
	v_xor_b32_e32 v0, v5, v0
	v_cndmask_b32_e32 v9, v39, v0, vcc
	v_cndmask_b32_e32 v8, 0, v8, vcc
	v_mul_f64 v[6:7], v[6:7], v[8:9]
	v_cvt_f32_f64_e32 v0, v[6:7]
	v_mov_b32_e32 v5, s9
	v_fma_f32 v0, s10, v0, v5
	v_mul_f32_e32 v5, 0x3fb8aa3b, v0
	v_fma_f32 v6, v0, s46, -v5
	v_rndne_f32_e32 v7, v5
	v_fmac_f32_e32 v6, 0x32a5705f, v0
	v_sub_f32_e32 v5, v5, v7
	v_add_f32_e32 v5, v5, v6
	v_exp_f32_e32 v5, v5
	v_cvt_i32_f32_e32 v8, v7
	v_cmp_ngt_f32_e32 vcc, s8, v0
	v_add_u32_e32 v6, s50, v29
	v_ashrrev_i32_e32 v7, 31, v6
	v_ldexp_f32 v5, v5, v8
	v_cndmask_b32_e32 v5, 0, v5, vcc
	v_cmp_nlt_f32_e32 vcc, s49, v0
	v_lshl_add_u64 v[6:7], s[16:17], 0, v[6:7]
	s_nop 0
	v_cndmask_b32_e32 v0, v41, v5, vcc
	v_bfe_u32 v5, v0, 16, 1
	v_add3_u32 v5, v0, v5, s47
	v_lshrrev_b32_e32 v5, 16, v5
	v_cmp_o_f32_e32 vcc, v0, v0
	s_nop 1
	v_cndmask_b32_e32 v0, v43, v5, vcc
	global_store_short v[6:7], v0, off
.LBB12_22:                              ;   in Loop: Header=BB12_8 Depth=1
	s_or_b64 exec, exec, s[44:45]
	v_lshl_add_u64 v[6:7], s[18:19], 0, v[14:15]
	v_cmp_gt_i64_e32 vcc, s[4:5], v[6:7]
	s_and_saveexec_b64 s[0:1], vcc
	s_cbranch_execz .LBB12_24
; %bb.23:                               ;   in Loop: Header=BB12_8 Depth=1
	v_add_u32_e32 v6, s50, v27
	v_ashrrev_i32_e32 v7, 31, v6
	v_lshl_add_u64 v[6:7], s[16:17], 0, v[6:7]
	global_store_short v[6:7], v21, off
.LBB12_24:                              ;   in Loop: Header=BB12_8 Depth=1
	s_or_b64 exec, exec, s[0:1]
	v_lshl_add_u64 v[6:7], s[20:21], 0, v[14:15]
	v_cmp_gt_i64_e32 vcc, s[4:5], v[6:7]
	s_and_saveexec_b64 s[0:1], vcc
	s_cbranch_execz .LBB12_7
; %bb.25:                               ;   in Loop: Header=BB12_8 Depth=1
	v_add_u32_e32 v6, s50, v25
	v_ashrrev_i32_e32 v7, 31, v6
	v_lshl_add_u64 v[6:7], s[16:17], 0, v[6:7]
	global_store_short v[6:7], v21, off
	s_branch .LBB12_7
.LBB12_26:
	s_endpgm
.LBB12_27:
                                        ; implicit-def: $sgpr10_sgpr11
	s_andn2_b64 vcc, exec, s[8:9]
	s_cbranch_vccz .LBB12_4
	s_branch .LBB12_5
	.section	.rodata,"a",@progbits
	.p2align	6, 0x0
	.amdhsa_kernel _ZN2at6native12_GLOBAL__N_143distribution_elementwise_grid_stride_kernelIfLi4EZNS0_9templates4cuda20normal_and_transformIN3c108BFloat16EfPNS_17CUDAGeneratorImplEZZZNS4_17log_normal_kernelIS9_EEvRNS_18TensorIteratorBaseEddT_ENKUlvE_clEvENKUlvE2_clEvEUlfE_EEvSC_T1_T2_EUlP25hiprandStatePhilox4_32_10E_ZNS1_27distribution_nullary_kernelIS7_f15HIP_vector_typeIdLj2EES9_SL_SG_EEvSC_SI_RKT3_T4_EUlifE_EEvlNS_15PhiloxCudaStateESH_SI_
		.amdhsa_group_segment_fixed_size 0
		.amdhsa_private_segment_fixed_size 0
		.amdhsa_kernarg_size 328
		.amdhsa_user_sgpr_count 2
		.amdhsa_user_sgpr_dispatch_ptr 0
		.amdhsa_user_sgpr_queue_ptr 0
		.amdhsa_user_sgpr_kernarg_segment_ptr 1
		.amdhsa_user_sgpr_dispatch_id 0
		.amdhsa_user_sgpr_kernarg_preload_length 0
		.amdhsa_user_sgpr_kernarg_preload_offset 0
		.amdhsa_user_sgpr_private_segment_size 0
		.amdhsa_uses_dynamic_stack 0
		.amdhsa_enable_private_segment 0
		.amdhsa_system_sgpr_workgroup_id_x 1
		.amdhsa_system_sgpr_workgroup_id_y 0
		.amdhsa_system_sgpr_workgroup_id_z 0
		.amdhsa_system_sgpr_workgroup_info 0
		.amdhsa_system_vgpr_workitem_id 0
		.amdhsa_next_free_vgpr 102
		.amdhsa_next_free_sgpr 51
		.amdhsa_accum_offset 104
		.amdhsa_reserve_vcc 1
		.amdhsa_float_round_mode_32 0
		.amdhsa_float_round_mode_16_64 0
		.amdhsa_float_denorm_mode_32 3
		.amdhsa_float_denorm_mode_16_64 3
		.amdhsa_dx10_clamp 1
		.amdhsa_ieee_mode 1
		.amdhsa_fp16_overflow 0
		.amdhsa_tg_split 0
		.amdhsa_exception_fp_ieee_invalid_op 0
		.amdhsa_exception_fp_denorm_src 0
		.amdhsa_exception_fp_ieee_div_zero 0
		.amdhsa_exception_fp_ieee_overflow 0
		.amdhsa_exception_fp_ieee_underflow 0
		.amdhsa_exception_fp_ieee_inexact 0
		.amdhsa_exception_int_div_zero 0
	.end_amdhsa_kernel
	.section	.text._ZN2at6native12_GLOBAL__N_143distribution_elementwise_grid_stride_kernelIfLi4EZNS0_9templates4cuda20normal_and_transformIN3c108BFloat16EfPNS_17CUDAGeneratorImplEZZZNS4_17log_normal_kernelIS9_EEvRNS_18TensorIteratorBaseEddT_ENKUlvE_clEvENKUlvE2_clEvEUlfE_EEvSC_T1_T2_EUlP25hiprandStatePhilox4_32_10E_ZNS1_27distribution_nullary_kernelIS7_f15HIP_vector_typeIdLj2EES9_SL_SG_EEvSC_SI_RKT3_T4_EUlifE_EEvlNS_15PhiloxCudaStateESH_SI_,"axG",@progbits,_ZN2at6native12_GLOBAL__N_143distribution_elementwise_grid_stride_kernelIfLi4EZNS0_9templates4cuda20normal_and_transformIN3c108BFloat16EfPNS_17CUDAGeneratorImplEZZZNS4_17log_normal_kernelIS9_EEvRNS_18TensorIteratorBaseEddT_ENKUlvE_clEvENKUlvE2_clEvEUlfE_EEvSC_T1_T2_EUlP25hiprandStatePhilox4_32_10E_ZNS1_27distribution_nullary_kernelIS7_f15HIP_vector_typeIdLj2EES9_SL_SG_EEvSC_SI_RKT3_T4_EUlifE_EEvlNS_15PhiloxCudaStateESH_SI_,comdat
.Lfunc_end12:
	.size	_ZN2at6native12_GLOBAL__N_143distribution_elementwise_grid_stride_kernelIfLi4EZNS0_9templates4cuda20normal_and_transformIN3c108BFloat16EfPNS_17CUDAGeneratorImplEZZZNS4_17log_normal_kernelIS9_EEvRNS_18TensorIteratorBaseEddT_ENKUlvE_clEvENKUlvE2_clEvEUlfE_EEvSC_T1_T2_EUlP25hiprandStatePhilox4_32_10E_ZNS1_27distribution_nullary_kernelIS7_f15HIP_vector_typeIdLj2EES9_SL_SG_EEvSC_SI_RKT3_T4_EUlifE_EEvlNS_15PhiloxCudaStateESH_SI_, .Lfunc_end12-_ZN2at6native12_GLOBAL__N_143distribution_elementwise_grid_stride_kernelIfLi4EZNS0_9templates4cuda20normal_and_transformIN3c108BFloat16EfPNS_17CUDAGeneratorImplEZZZNS4_17log_normal_kernelIS9_EEvRNS_18TensorIteratorBaseEddT_ENKUlvE_clEvENKUlvE2_clEvEUlfE_EEvSC_T1_T2_EUlP25hiprandStatePhilox4_32_10E_ZNS1_27distribution_nullary_kernelIS7_f15HIP_vector_typeIdLj2EES9_SL_SG_EEvSC_SI_RKT3_T4_EUlifE_EEvlNS_15PhiloxCudaStateESH_SI_
                                        ; -- End function
	.section	.AMDGPU.csdata,"",@progbits
; Kernel info:
; codeLenInByte = 4344
; NumSgprs: 57
; NumVgprs: 102
; NumAgprs: 0
; TotalNumVgprs: 102
; ScratchSize: 0
; MemoryBound: 0
; FloatMode: 240
; IeeeMode: 1
; LDSByteSize: 0 bytes/workgroup (compile time only)
; SGPRBlocks: 7
; VGPRBlocks: 12
; NumSGPRsForWavesPerEU: 57
; NumVGPRsForWavesPerEU: 102
; AccumOffset: 104
; Occupancy: 4
; WaveLimiterHint : 0
; COMPUTE_PGM_RSRC2:SCRATCH_EN: 0
; COMPUTE_PGM_RSRC2:USER_SGPR: 2
; COMPUTE_PGM_RSRC2:TRAP_HANDLER: 0
; COMPUTE_PGM_RSRC2:TGID_X_EN: 1
; COMPUTE_PGM_RSRC2:TGID_Y_EN: 0
; COMPUTE_PGM_RSRC2:TGID_Z_EN: 0
; COMPUTE_PGM_RSRC2:TIDIG_COMP_CNT: 0
; COMPUTE_PGM_RSRC3_GFX90A:ACCUM_OFFSET: 25
; COMPUTE_PGM_RSRC3_GFX90A:TG_SPLIT: 0
	.section	.text._ZN2at6native12_GLOBAL__N_143distribution_elementwise_grid_stride_kernelIfLi4EZNS0_9templates4cuda20normal_and_transformIN3c108BFloat16EfPNS_17CUDAGeneratorImplEZZZNS4_17log_normal_kernelIS9_EEvRNS_18TensorIteratorBaseEddT_ENKUlvE_clEvENKUlvE2_clEvEUlfE_EEvSC_T1_T2_EUlP25hiprandStatePhilox4_32_10E_ZNS1_27distribution_nullary_kernelIS7_f15HIP_vector_typeIdLj2EES9_SL_SG_EEvSC_SI_RKT3_T4_EUlifE0_EEvlNS_15PhiloxCudaStateESH_SI_,"axG",@progbits,_ZN2at6native12_GLOBAL__N_143distribution_elementwise_grid_stride_kernelIfLi4EZNS0_9templates4cuda20normal_and_transformIN3c108BFloat16EfPNS_17CUDAGeneratorImplEZZZNS4_17log_normal_kernelIS9_EEvRNS_18TensorIteratorBaseEddT_ENKUlvE_clEvENKUlvE2_clEvEUlfE_EEvSC_T1_T2_EUlP25hiprandStatePhilox4_32_10E_ZNS1_27distribution_nullary_kernelIS7_f15HIP_vector_typeIdLj2EES9_SL_SG_EEvSC_SI_RKT3_T4_EUlifE0_EEvlNS_15PhiloxCudaStateESH_SI_,comdat
	.globl	_ZN2at6native12_GLOBAL__N_143distribution_elementwise_grid_stride_kernelIfLi4EZNS0_9templates4cuda20normal_and_transformIN3c108BFloat16EfPNS_17CUDAGeneratorImplEZZZNS4_17log_normal_kernelIS9_EEvRNS_18TensorIteratorBaseEddT_ENKUlvE_clEvENKUlvE2_clEvEUlfE_EEvSC_T1_T2_EUlP25hiprandStatePhilox4_32_10E_ZNS1_27distribution_nullary_kernelIS7_f15HIP_vector_typeIdLj2EES9_SL_SG_EEvSC_SI_RKT3_T4_EUlifE0_EEvlNS_15PhiloxCudaStateESH_SI_ ; -- Begin function _ZN2at6native12_GLOBAL__N_143distribution_elementwise_grid_stride_kernelIfLi4EZNS0_9templates4cuda20normal_and_transformIN3c108BFloat16EfPNS_17CUDAGeneratorImplEZZZNS4_17log_normal_kernelIS9_EEvRNS_18TensorIteratorBaseEddT_ENKUlvE_clEvENKUlvE2_clEvEUlfE_EEvSC_T1_T2_EUlP25hiprandStatePhilox4_32_10E_ZNS1_27distribution_nullary_kernelIS7_f15HIP_vector_typeIdLj2EES9_SL_SG_EEvSC_SI_RKT3_T4_EUlifE0_EEvlNS_15PhiloxCudaStateESH_SI_
	.p2align	8
	.type	_ZN2at6native12_GLOBAL__N_143distribution_elementwise_grid_stride_kernelIfLi4EZNS0_9templates4cuda20normal_and_transformIN3c108BFloat16EfPNS_17CUDAGeneratorImplEZZZNS4_17log_normal_kernelIS9_EEvRNS_18TensorIteratorBaseEddT_ENKUlvE_clEvENKUlvE2_clEvEUlfE_EEvSC_T1_T2_EUlP25hiprandStatePhilox4_32_10E_ZNS1_27distribution_nullary_kernelIS7_f15HIP_vector_typeIdLj2EES9_SL_SG_EEvSC_SI_RKT3_T4_EUlifE0_EEvlNS_15PhiloxCudaStateESH_SI_,@function
_ZN2at6native12_GLOBAL__N_143distribution_elementwise_grid_stride_kernelIfLi4EZNS0_9templates4cuda20normal_and_transformIN3c108BFloat16EfPNS_17CUDAGeneratorImplEZZZNS4_17log_normal_kernelIS9_EEvRNS_18TensorIteratorBaseEddT_ENKUlvE_clEvENKUlvE2_clEvEUlfE_EEvSC_T1_T2_EUlP25hiprandStatePhilox4_32_10E_ZNS1_27distribution_nullary_kernelIS7_f15HIP_vector_typeIdLj2EES9_SL_SG_EEvSC_SI_RKT3_T4_EUlifE0_EEvlNS_15PhiloxCudaStateESH_SI_: ; @_ZN2at6native12_GLOBAL__N_143distribution_elementwise_grid_stride_kernelIfLi4EZNS0_9templates4cuda20normal_and_transformIN3c108BFloat16EfPNS_17CUDAGeneratorImplEZZZNS4_17log_normal_kernelIS9_EEvRNS_18TensorIteratorBaseEddT_ENKUlvE_clEvENKUlvE2_clEvEUlfE_EEvSC_T1_T2_EUlP25hiprandStatePhilox4_32_10E_ZNS1_27distribution_nullary_kernelIS7_f15HIP_vector_typeIdLj2EES9_SL_SG_EEvSC_SI_RKT3_T4_EUlifE0_EEvlNS_15PhiloxCudaStateESH_SI_
; %bb.0:
	s_load_dword s3, s[0:1], 0x20
	s_load_dwordx2 s[4:5], s[0:1], 0x10
	s_load_dwordx4 s[24:27], s[0:1], 0x0
	s_mov_b32 s35, 0
	s_waitcnt lgkmcnt(0)
	s_bitcmp0_b32 s3, 0
	v_mov_b64_e32 v[2:3], s[4:5]
	v_mov_b64_e32 v[12:13], s[26:27]
	s_cbranch_scc1 .LBB13_2
; %bb.1:
	v_mov_b64_e32 v[4:5], s[4:5]
	v_mov_b64_e32 v[2:3], s[26:27]
	flat_load_dwordx2 v[6:7], v[4:5]
	flat_load_dwordx2 v[12:13], v[2:3]
	s_load_dwordx2 s[4:5], s[0:1], 0x18
	s_waitcnt vmcnt(0) lgkmcnt(0)
	v_lshl_add_u64 v[2:3], v[6:7], 0, s[4:5]
.LBB13_2:
	s_load_dword s4, s[0:1], 0x154
	s_load_dword s3, s[0:1], 0x148
	s_mov_b32 s6, s35
	s_waitcnt lgkmcnt(0)
	s_and_b32 s8, s4, 0xffff
	s_add_u32 s9, s24, -1
	s_mul_i32 s26, s3, s8
	s_addc_u32 s7, s25, -1
	s_lshl_b32 s34, s26, 2
	s_cmp_lg_u64 s[6:7], 0
	s_mov_b64 s[4:5], -1
	s_cbranch_scc0 .LBB13_83
; %bb.3:
	v_cvt_f32_u32_e32 v1, s34
	v_cvt_f32_ubyte0_e32 v4, 0
	s_sub_u32 s6, 0, s34
	s_subb_u32 s10, 0, 0
	v_fmamk_f32 v1, v4, 0x4f800000, v1
	v_rcp_f32_e32 v1, v1
	s_nop 0
	v_mul_f32_e32 v1, 0x5f7ffffc, v1
	v_mul_f32_e32 v4, 0x2f800000, v1
	v_trunc_f32_e32 v4, v4
	v_fmamk_f32 v1, v4, 0xcf800000, v1
	v_cvt_u32_f32_e32 v4, v4
	v_cvt_u32_f32_e32 v1, v1
	v_readfirstlane_b32 s11, v4
	v_readfirstlane_b32 s12, v1
	s_mul_i32 s13, s6, s11
	s_mul_hi_u32 s15, s6, s12
	s_mul_i32 s14, s10, s12
	s_add_i32 s13, s15, s13
	s_add_i32 s13, s13, s14
	s_mul_i32 s16, s6, s12
	s_mul_hi_u32 s14, s12, s13
	s_mul_i32 s15, s12, s13
	s_mul_hi_u32 s12, s12, s16
	s_add_u32 s12, s12, s15
	s_addc_u32 s14, 0, s14
	s_mul_hi_u32 s17, s11, s16
	s_mul_i32 s16, s11, s16
	s_add_u32 s12, s12, s16
	s_mul_hi_u32 s15, s11, s13
	s_addc_u32 s12, s14, s17
	s_addc_u32 s14, s15, 0
	s_mul_i32 s13, s11, s13
	s_add_u32 s12, s12, s13
	s_addc_u32 s13, 0, s14
	v_add_co_u32_e32 v1, vcc, s12, v1
	s_cmp_lg_u64 vcc, 0
	s_addc_u32 s11, s11, s13
	v_readfirstlane_b32 s13, v1
	s_mul_i32 s12, s6, s11
	s_mul_hi_u32 s14, s6, s13
	s_add_i32 s12, s14, s12
	s_mul_i32 s10, s10, s13
	s_add_i32 s12, s12, s10
	s_mul_i32 s6, s6, s13
	s_mul_hi_u32 s14, s11, s6
	s_mul_i32 s15, s11, s6
	s_mul_i32 s17, s13, s12
	s_mul_hi_u32 s6, s13, s6
	s_mul_hi_u32 s16, s13, s12
	s_add_u32 s6, s6, s17
	s_addc_u32 s13, 0, s16
	s_add_u32 s6, s6, s15
	s_mul_hi_u32 s10, s11, s12
	s_addc_u32 s6, s13, s14
	s_addc_u32 s10, s10, 0
	s_mul_i32 s12, s11, s12
	s_add_u32 s6, s6, s12
	s_addc_u32 s10, 0, s10
	v_add_co_u32_e32 v1, vcc, s6, v1
	s_cmp_lg_u64 vcc, 0
	s_addc_u32 s12, s11, s10
	s_ashr_i32 s10, s7, 31
	s_add_u32 s6, s9, s10
	s_mov_b32 s11, s10
	s_addc_u32 s7, s7, s10
	s_xor_b64 s[6:7], s[6:7], s[10:11]
	v_readfirstlane_b32 s15, v1
	s_mul_i32 s14, s6, s12
	s_mul_hi_u32 s16, s6, s15
	s_mul_hi_u32 s13, s6, s12
	s_add_u32 s14, s16, s14
	s_addc_u32 s13, 0, s13
	s_mul_hi_u32 s17, s7, s15
	s_mul_i32 s15, s7, s15
	s_add_u32 s14, s14, s15
	s_mul_hi_u32 s16, s7, s12
	s_addc_u32 s13, s13, s17
	s_addc_u32 s14, s16, 0
	s_mul_i32 s12, s7, s12
	s_add_u32 s12, s13, s12
	s_addc_u32 s13, 0, s14
	s_add_u32 s14, s12, 1
	s_addc_u32 s15, s13, 0
	s_add_u32 s16, s12, 2
	s_mul_i32 s18, s34, s13
	s_mul_hi_u32 s19, s34, s12
	s_addc_u32 s17, s13, 0
	s_add_i32 s19, s19, s18
	s_mul_i32 s18, s34, s12
	v_mov_b32_e32 v1, s18
	v_sub_co_u32_e32 v1, vcc, s6, v1
	s_cmp_lg_u64 vcc, 0
	s_subb_u32 s6, s7, s19
	v_subrev_co_u32_e32 v4, vcc, s34, v1
	s_cmp_lg_u64 vcc, 0
	s_subb_u32 s7, s6, 0
	v_readfirstlane_b32 s18, v4
	s_cmp_ge_u32 s18, s34
	s_cselect_b32 s18, -1, 0
	s_cmp_eq_u32 s7, 0
	s_cselect_b32 s7, s18, -1
	s_cmp_lg_u32 s7, 0
	s_cselect_b32 s7, s17, s15
	v_readfirstlane_b32 s15, v1
	s_cselect_b32 s14, s16, s14
	s_cmp_ge_u32 s15, s34
	s_cselect_b32 s15, -1, 0
	s_cmp_eq_u32 s6, 0
	s_cselect_b32 s6, s15, -1
	s_cmp_lg_u32 s6, 0
	s_cselect_b32 s7, s7, s13
	s_cselect_b32 s6, s14, s12
	s_xor_b64 s[6:7], s[6:7], s[10:11]
	s_sub_u32 s6, s6, s10
	s_subb_u32 s7, s7, s10
	s_cbranch_execnz .LBB13_5
.LBB13_4:
	v_cvt_f32_u32_e32 v1, s34
	s_sub_i32 s4, 0, s34
	s_mov_b32 s7, 0
	v_rcp_iflag_f32_e32 v1, v1
	s_nop 0
	v_mul_f32_e32 v1, 0x4f7ffffe, v1
	v_cvt_u32_f32_e32 v1, v1
	s_nop 0
	v_readfirstlane_b32 s5, v1
	s_mul_i32 s4, s4, s5
	s_mul_hi_u32 s4, s5, s4
	s_add_i32 s5, s5, s4
	s_mul_hi_u32 s4, s9, s5
	s_mul_i32 s6, s4, s34
	s_sub_i32 s6, s9, s6
	s_add_i32 s5, s4, 1
	s_sub_i32 s9, s6, s34
	s_cmp_ge_u32 s6, s34
	s_cselect_b32 s4, s5, s4
	s_cselect_b32 s6, s9, s6
	s_add_i32 s5, s4, 1
	s_cmp_ge_u32 s6, s34
	s_cselect_b32 s6, s5, s4
.LBB13_5:
	v_mov_b32_e32 v1, 0
	v_mov_b32_e32 v4, s2
	v_mad_u64_u32 v[14:15], s[4:5], s8, v4, v[0:1]
	s_add_u32 s2, s6, 1
	s_addc_u32 s4, s7, 0
	s_mul_hi_u32 s3, s3, s8
	s_mul_i32 s4, s26, s4
	s_mul_hi_u32 s5, s26, s2
	s_add_i32 s4, s5, s4
	s_mul_i32 s3, s3, s2
	s_add_i32 s3, s4, s3
	s_mul_i32 s2, s26, s2
	s_lshl_b64 s[44:45], s[2:3], 2
	v_cmp_gt_i64_e32 vcc, s[44:45], v[14:15]
	s_and_saveexec_b64 s[2:3], vcc
	s_cbranch_execz .LBB13_82
; %bb.6:
	v_mov_b32_e32 v0, v13
	s_mov_b64 s[2:3], 0xdb3d7428
	v_lshl_add_u64 v[16:17], v[0:1], 0, s[2:3]
	s_mov_b64 s[2:3], 0x5384540f
	v_lshl_add_u64 v[18:19], v[12:13], 0, s[2:3]
	;; [unrolled: 2-line block ×7, first 2 shown]
	s_mov_b64 s[2:3], 0x9e3779b9
	v_alignbit_b32 v17, v3, v2, 2
	s_mov_b32 s33, 0xd2511f53
	v_lshl_add_u64 v[30:31], v[12:13], 0, s[2:3]
	v_mad_u64_u32 v[4:5], s[2:3], v17, s33, 0
	v_and_b32_e32 v88, 3, v2
	v_xor_b32_e32 v2, v5, v13
	v_xor_b32_e32 v2, v2, v15
	s_mov_b32 s90, 0xcd9e8d57
	v_mad_u64_u32 v[6:7], s[2:3], v2, s90, 0
	v_xor_b32_e32 v2, v30, v7
	v_mad_u64_u32 v[8:9], s[2:3], v14, s90, 0
	v_xor_b32_e32 v2, v2, v8
	;; [unrolled: 2-line block ×3, first 2 shown]
	v_lshrrev_b32_e32 v19, 2, v3
	v_xor_b32_e32 v2, v2, v19
	v_xor_b32_e32 v5, v28, v11
	v_mad_u64_u32 v[2:3], s[2:3], v2, s33, 0
	v_xor_b32_e32 v2, v5, v2
	v_mad_u64_u32 v[8:9], s[2:3], v2, s90, 0
	s_mov_b64 s[2:3], 0xbb67ae85
	s_nop 0
	v_lshl_add_u64 v[32:33], v[0:1], 0, s[2:3]
	v_xor_b32_e32 v2, v32, v3
	v_xor_b32_e32 v2, v2, v4
	v_xor_b32_e32 v5, v26, v9
	v_mad_u64_u32 v[2:3], s[2:3], v2, s90, 0
	v_xor_b32_e32 v2, v5, v2
	v_mad_u64_u32 v[4:5], s[2:3], v2, s33, 0
	s_mov_b64 s[2:3], 0x3c6ef372
	s_nop 0
	v_lshl_add_u64 v[34:35], v[12:13], 0, s[2:3]
	v_xor_b32_e32 v2, v34, v3
	;; [unrolled: 9-line block ×7, first 2 shown]
	v_xor_b32_e32 v0, v0, v10
	v_mad_u64_u32 v[2:3], s[2:3], v0, s90, 0
	s_mov_b64 s[2:3], 0xf1bbcdc8
	v_add_u32_e32 v89, 0x8ff34781, v12
	v_xor_b32_e32 v0, v49, v2
	v_lshl_add_u64 v[46:47], v[12:13], 0, s[2:3]
	v_xor_b32_e32 v6, v89, v0
	v_xor_b32_e32 v0, v46, v3
	;; [unrolled: 1-line block ×3, first 2 shown]
	s_load_dwordx8 s[8:15], s[0:1], 0x30
	v_mad_u64_u32 v[2:3], s[2:3], v0, s33, 0
	v_add_u32_e32 v90, 0x96a522ad, v13
	v_xor_b32_e32 v0, v3, v4
	v_xor_b32_e32 v8, v90, v0
	v_mov_b32_e32 v9, v2
	v_mov_b32_e32 v0, 0xffc00000
	;; [unrolled: 1-line block ×3, first 2 shown]
	s_add_u32 s46, s0, 48
	v_fmac_f32_e32 v0, s0, v2
	v_mov_b32_e32 v2, 0x32a5705f
	s_addc_u32 s47, s1, 0
	s_waitcnt lgkmcnt(0)
	s_add_i32 s2, s8, -1
	v_fmac_f32_e32 v0, s0, v2
	v_rndne_f32_e32 v2, 0x7fc00000
	s_cmp_gt_u32 s2, 1
	v_sub_f32_e32 v3, 0x7fc00000, v2
	s_cselect_b64 s[48:49], -1, 0
	s_cmp_lg_u32 s8, 0
	v_add_f32_e32 v0, v3, v0
	s_cselect_b64 s[50:51], -1, 0
	s_add_u32 s52, s0, 0xf4
	v_exp_f32_e32 v0, v0
	v_cvt_i32_f32_e32 v2, v2
	s_addc_u32 s53, s1, 0
	s_min_u32 s3, s2, 15
	s_cmp_gt_u32 s8, 1
	s_cselect_b64 s[54:55], -1, 0
	s_add_i32 s3, s3, 1
	s_load_dwordx2 s[56:57], s[0:1], 0xf4
	s_load_dwordx4 s[28:31], s[0:1], 0x138
	s_lshl_b32 s58, s26, 1
	v_ldexp_f32 v0, v0, v2
	s_and_b32 s91, s3, 3
	v_bfe_u32 v2, v0, 16, 1
	s_cmp_lg_u32 s2, 2
	v_add_u32_e32 v0, v0, v2
	s_cselect_b64 s[62:63], -1, 0
	s_and_b32 s92, s3, 28
	s_mov_b32 s27, 0
	v_add_u32_e32 v0, 0x7fff, v0
	s_cmp_lg_u32 s91, 0
	s_mov_b32 s68, 0x55555555
	s_mov_b32 s70, 0xbf559e2b
	;; [unrolled: 1-line block ×9, first 2 shown]
	v_mov_b32_e32 v7, v48
	s_mov_b32 s8, s13
	s_mov_b32 s59, s27
	;; [unrolled: 1-line block ×3, first 2 shown]
	s_movk_i32 s15, 0x7fff
	v_lshrrev_b32_e32 v21, 16, v0
	s_mul_i32 s60, s26, 3
	s_mov_b32 s61, s27
	s_mov_b64 s[64:65], 0
	s_cselect_b64 s[66:67], -1, 0
	s_mov_b32 s69, 0x3fe55555
	s_mov_b32 s71, 0x3fc3ab76
	;; [unrolled: 1-line block ×5, first 2 shown]
	s_brev_b32 s79, 8
	s_mov_b32 s81, 0x3f3e357e
	s_mov_b32 s83, 0x400921fb
	;; [unrolled: 1-line block ×5, first 2 shown]
	v_mov_b32_e32 v48, 0x6b47b09a
	v_mov_b32_e32 v49, 0x3fc38538
	;; [unrolled: 1-line block ×42, first 2 shown]
	s_branch .LBB13_9
.LBB13_7:                               ;   in Loop: Header=BB13_9 Depth=1
	s_waitcnt lgkmcnt(0)
	global_store_short v8, v21, s[28:29]
.LBB13_8:                               ;   in Loop: Header=BB13_9 Depth=1
	s_or_b64 exec, exec, s[36:37]
	v_mov_b32_e32 v5, v82
	v_lshl_add_u64 v[14:15], v[14:15], 0, s[34:35]
	v_cmp_le_i64_e32 vcc, s[44:45], v[14:15]
	v_mov_b64_e32 v[8:9], v[4:5]
	s_or_b64 s[64:65], vcc, s[64:65]
	v_mov_b64_e32 v[6:7], v[2:3]
	s_waitcnt lgkmcnt(0)
	s_barrier
	s_andn2_b64 exec, exec, s[64:65]
	s_cbranch_execz .LBB13_82
.LBB13_9:                               ; =>This Loop Header: Depth=1
                                        ;     Child Loop BB13_24 Depth 2
                                        ;     Child Loop BB13_30 Depth 2
	;; [unrolled: 1-line block ×8, first 2 shown]
	v_add_co_u32_e32 v17, vcc, 1, v17
	v_mad_u64_u32 v[2:3], s[0:1], v17, s33, 0
	s_nop 0
	v_cndmask_b32_e64 v0, 0, 1, vcc
	v_addc_co_u32_e32 v19, vcc, 0, v19, vcc
	v_cmp_eq_u32_e32 vcc, 0, v19
	v_xor_b32_e32 v3, v3, v13
	s_nop 0
	v_cndmask_b32_e32 v0, 0, v0, vcc
	v_add_u32_e32 v35, v0, v35
	v_cmp_eq_u32_e32 vcc, 0, v35
	v_mad_u64_u32 v[4:5], s[0:1], v35, s90, 0
	s_nop 0
	v_cndmask_b32_e32 v0, 0, v0, vcc
	v_add_u32_e32 v37, v0, v37
	v_xor_b32_e32 v0, v5, v12
	v_xor_b32_e32 v0, v19, v0
	v_xor_b32_e32 v3, v37, v3
	v_mad_u64_u32 v[10:11], s[0:1], v0, s33, 0
	v_mad_u64_u32 v[82:83], s[0:1], v3, s90, 0
	v_xor_b32_e32 v0, v30, v83
	v_xor_b32_e32 v3, v32, v11
	v_xor_b32_e32 v0, v0, v4
	v_xor_b32_e32 v4, v3, v2
	v_mad_u64_u32 v[2:3], s[0:1], v0, s33, 0
	v_mad_u64_u32 v[4:5], s[0:1], v4, s90, 0
	v_xor_b32_e32 v0, v34, v5
	;; [unrolled: 6-line block ×9, first 2 shown]
	v_xor_b32_e32 v2, v89, v0
	v_xor_b32_e32 v0, v83, v4
	;; [unrolled: 1-line block ×3, first 2 shown]
	v_mov_b32_e32 v3, v10
	v_mov_b32_e32 v4, v11
	v_cmp_lt_i32_e32 vcc, 1, v88
	s_and_saveexec_b64 s[0:1], vcc
	s_xor_b64 s[0:1], exec, s[0:1]
	s_cbranch_execz .LBB13_15
; %bb.10:                               ;   in Loop: Header=BB13_9 Depth=1
	v_cmp_lt_i32_e32 vcc, 2, v88
	s_and_saveexec_b64 s[2:3], vcc
	s_xor_b64 s[2:3], exec, s[2:3]
; %bb.11:                               ;   in Loop: Header=BB13_9 Depth=1
	v_mov_b32_e32 v8, v9
	v_mov_b32_e32 v9, v2
	v_mov_b64_e32 v[6:7], v[8:9]
	v_mov_b64_e32 v[8:9], v[10:11]
                                        ; implicit-def: $vgpr10_vgpr11
; %bb.12:                               ;   in Loop: Header=BB13_9 Depth=1
	s_andn2_saveexec_b64 s[2:3], s[2:3]
; %bb.13:                               ;   in Loop: Header=BB13_9 Depth=1
	v_mov_b32_e32 v6, v8
	v_mov_b32_e32 v7, v9
	;; [unrolled: 1-line block ×4, first 2 shown]
; %bb.14:                               ;   in Loop: Header=BB13_9 Depth=1
	s_or_b64 exec, exec, s[2:3]
.LBB13_15:                              ;   in Loop: Header=BB13_9 Depth=1
	s_andn2_saveexec_b64 s[0:1], s[0:1]
	s_cbranch_execz .LBB13_19
; %bb.16:                               ;   in Loop: Header=BB13_9 Depth=1
	v_cmp_eq_u32_e32 vcc, 1, v88
	s_and_saveexec_b64 s[2:3], vcc
; %bb.17:                               ;   in Loop: Header=BB13_9 Depth=1
	v_mov_b32_e32 v6, v7
	v_mov_b32_e32 v7, v8
	;; [unrolled: 1-line block ×4, first 2 shown]
; %bb.18:                               ;   in Loop: Header=BB13_9 Depth=1
	s_or_b64 exec, exec, s[2:3]
.LBB13_19:                              ;   in Loop: Header=BB13_9 Depth=1
	s_or_b64 exec, exec, s[0:1]
	v_mov_b32_e32 v0, v7
	v_lshlrev_b64 v[10:11], 21, v[0:1]
	v_xor_b32_e32 v0, v10, v6
	v_cvt_f64_u32_e32 v[6:7], v11
	v_ldexp_f64 v[6:7], v[6:7], 32
	v_cvt_f64_u32_e32 v[10:11], v0
	v_add_f64 v[6:7], v[6:7], v[10:11]
	v_mov_b32_e32 v10, 0
	v_mov_b32_e32 v11, 0x3ca00000
	v_fmac_f64_e32 v[10:11], 0x3ca00000, v[6:7]
	v_frexp_mant_f64_e32 v[84:85], v[10:11]
	v_mov_b32_e32 v5, 0x3ff00000
	v_cmp_gt_f64_e32 vcc, s[68:69], v[84:85]
	v_mov_b32_e32 v86, v1
	v_mov_b32_e32 v0, v9
	v_cndmask_b32_e64 v87, v5, 2.0, vcc
	v_mul_f64 v[84:85], v[84:85], v[86:87]
	v_add_f64 v[86:87], v[84:85], 1.0
	v_rcp_f64_e32 v[92:93], v[86:87]
	v_add_f64 v[96:97], v[86:87], -1.0
	v_add_f64 v[94:95], v[84:85], -1.0
	v_add_f64 v[84:85], v[84:85], -v[96:97]
	v_fma_f64 v[96:97], -v[86:87], v[92:93], 1.0
	v_fmac_f64_e32 v[92:93], v[96:97], v[92:93]
	v_fma_f64 v[96:97], -v[86:87], v[92:93], 1.0
	v_fmac_f64_e32 v[92:93], v[96:97], v[92:93]
	v_mul_f64 v[96:97], v[94:95], v[92:93]
	v_mul_f64 v[98:99], v[86:87], v[96:97]
	v_fma_f64 v[86:87], v[96:97], v[86:87], -v[98:99]
	v_fmac_f64_e32 v[86:87], v[96:97], v[84:85]
	v_add_f64 v[84:85], v[98:99], v[86:87]
	v_add_f64 v[100:101], v[94:95], -v[84:85]
	v_add_f64 v[98:99], v[84:85], -v[98:99]
	;; [unrolled: 1-line block ×5, first 2 shown]
	v_add_f64 v[84:85], v[86:87], v[84:85]
	v_add_f64 v[84:85], v[100:101], v[84:85]
	v_mul_f64 v[84:85], v[92:93], v[84:85]
	v_add_f64 v[86:87], v[96:97], v[84:85]
	v_add_f64 v[92:93], v[86:87], -v[96:97]
	v_add_f64 v[84:85], v[84:85], -v[92:93]
	v_mul_f64 v[92:93], v[86:87], v[86:87]
	v_mov_b64_e32 v[94:95], v[48:49]
	v_fmac_f64_e32 v[94:95], s[70:71], v[92:93]
	v_mov_b64_e32 v[96:97], v[50:51]
	v_fmac_f64_e32 v[96:97], v[92:93], v[94:95]
	;; [unrolled: 2-line block ×6, first 2 shown]
	v_ldexp_f64 v[94:95], v[86:87], 1
	v_mul_f64 v[86:87], v[86:87], v[92:93]
	v_mul_f64 v[86:87], v[86:87], v[96:97]
	v_add_f64 v[92:93], v[94:95], v[86:87]
	v_add_f64 v[94:95], v[92:93], -v[94:95]
	v_lshlrev_b64 v[6:7], 21, v[0:1]
	v_ldexp_f64 v[84:85], v[84:85], 1
	v_add_f64 v[86:87], v[86:87], -v[94:95]
	v_xor_b32_e32 v0, v6, v8
	v_add_f64 v[84:85], v[84:85], v[86:87]
	v_cvt_f64_u32_e32 v[8:9], v0
	v_frexp_exp_i32_f64_e32 v0, v[10:11]
	v_add_f64 v[86:87], v[92:93], v[84:85]
	v_subbrev_co_u32_e32 v0, vcc, 0, v0, vcc
	v_add_f64 v[92:93], v[86:87], -v[92:93]
	v_add_f64 v[84:85], v[84:85], -v[92:93]
	v_cvt_f64_i32_e32 v[92:93], v0
	v_mul_f64 v[94:95], v[92:93], s[72:73]
	v_fma_f64 v[96:97], v[92:93], s[72:73], -v[94:95]
	v_fmac_f64_e32 v[96:97], s[74:75], v[92:93]
	v_add_f64 v[92:93], v[94:95], v[96:97]
	v_add_f64 v[94:95], v[92:93], -v[94:95]
	v_add_f64 v[94:95], v[96:97], -v[94:95]
	v_add_f64 v[96:97], v[92:93], v[86:87]
	v_add_f64 v[98:99], v[96:97], -v[92:93]
	v_add_f64 v[100:101], v[96:97], -v[98:99]
	v_add_f64 v[92:93], v[92:93], -v[100:101]
	v_add_f64 v[86:87], v[86:87], -v[98:99]
	v_add_f64 v[86:87], v[86:87], v[92:93]
	v_add_f64 v[92:93], v[94:95], v[84:85]
	v_add_f64 v[98:99], v[92:93], -v[94:95]
	v_add_f64 v[100:101], v[92:93], -v[98:99]
	v_add_f64 v[86:87], v[92:93], v[86:87]
	v_add_f64 v[94:95], v[94:95], -v[100:101]
	v_add_f64 v[84:85], v[84:85], -v[98:99]
	v_add_f64 v[92:93], v[96:97], v[86:87]
	v_add_f64 v[84:85], v[84:85], v[94:95]
	v_add_f64 v[94:95], v[92:93], -v[96:97]
	v_add_f64 v[86:87], v[86:87], -v[94:95]
	v_add_f64 v[84:85], v[84:85], v[86:87]
	v_add_f64 v[84:85], v[92:93], v[84:85]
	v_cmp_eq_f64_e32 vcc, s[76:77], v[10:11]
	v_cvt_f64_u32_e32 v[6:7], v7
	v_ldexp_f64 v[6:7], v[6:7], 32
	v_cndmask_b32_e32 v85, v85, v11, vcc
	v_cndmask_b32_e32 v84, v84, v10, vcc
	v_mul_f64 v[84:85], v[84:85], -2.0
	v_cmp_neq_f64_e32 vcc, 0, v[10:11]
	v_add_f64 v[6:7], v[6:7], v[8:9]
	s_nop 0
	v_cndmask_b32_e32 v11, v25, v85, vcc
	v_cndmask_b32_e32 v10, 0, v84, vcc
	v_cmp_gt_f64_e32 vcc, s[78:79], v[10:11]
	v_mov_b32_e32 v84, 0
	v_mov_b32_e32 v85, 0x3cb00000
	v_cndmask_b32_e64 v0, 0, 1, vcc
	v_lshlrev_b32_e32 v0, 8, v0
	v_ldexp_f64 v[10:11], v[10:11], v0
	v_rsq_f64_e32 v[86:87], v[10:11]
	v_fmac_f64_e32 v[84:85], 0x3cb00000, v[6:7]
	v_cndmask_b32_e32 v0, 0, v27, vcc
	v_cmp_class_f64_e32 vcc, v[10:11], v23
	v_mul_f64 v[6:7], v[10:11], v[86:87]
	v_mul_f64 v[8:9], v[86:87], 0.5
	v_fma_f64 v[86:87], -v[8:9], v[6:7], 0.5
	v_fmac_f64_e32 v[6:7], v[6:7], v[86:87]
	v_fma_f64 v[92:93], -v[6:7], v[6:7], v[10:11]
	v_fmac_f64_e32 v[8:9], v[8:9], v[86:87]
	v_fmac_f64_e32 v[6:7], v[92:93], v[8:9]
	v_fma_f64 v[86:87], -v[6:7], v[6:7], v[10:11]
	v_fmac_f64_e32 v[6:7], v[86:87], v[8:9]
	v_ldexp_f64 v[6:7], v[6:7], v0
	v_mul_f64 v[8:9], v[84:85], 0.5
	v_cndmask_b32_e32 v7, v7, v11, vcc
	v_cndmask_b32_e32 v6, v6, v10, vcc
	v_fract_f64_e32 v[10:11], v[8:9]
	v_add_f64 v[10:11], v[10:11], v[10:11]
	v_cmp_neq_f64_e32 vcc, s[76:77], v[8:9]
	v_mov_b64_e32 v[92:93], v[62:63]
	v_cmp_lg_f64_e64 s[2:3], s[76:77], v[84:85]
	v_cndmask_b32_e32 v0, 0, v10, vcc
	v_cndmask_b32_e32 v5, 0, v11, vcc
	v_cmp_lt_f64_e32 vcc, 1.0, v[84:85]
	s_nop 1
	v_cndmask_b32_e32 v11, v85, v5, vcc
	v_cndmask_b32_e32 v10, v84, v0, vcc
	v_add_f64 v[8:9], v[10:11], v[10:11]
	v_rndne_f64_e32 v[8:9], v[8:9]
	v_fmac_f64_e32 v[10:11], -0.5, v[8:9]
	v_cvt_i32_f64_e32 v5, v[8:9]
	v_mul_f64 v[86:87], v[10:11], v[10:11]
	v_mov_b64_e32 v[8:9], v[60:61]
	v_fmac_f64_e32 v[8:9], s[80:81], v[86:87]
	v_fmac_f64_e32 v[92:93], v[86:87], v[8:9]
	v_mov_b64_e32 v[8:9], v[64:65]
	v_fmac_f64_e32 v[8:9], v[86:87], v[92:93]
	v_mov_b64_e32 v[92:93], v[66:67]
	;; [unrolled: 2-line block ×3, first 2 shown]
	v_fmac_f64_e32 v[8:9], v[86:87], v[92:93]
	v_mul_f64 v[92:93], v[10:11], v[86:87]
	v_mul_f64 v[8:9], v[92:93], v[8:9]
	v_fmac_f64_e32 v[8:9], s[82:83], v[10:11]
	v_mov_b64_e32 v[10:11], v[70:71]
	v_fmac_f64_e32 v[10:11], s[84:85], v[86:87]
	v_mov_b64_e32 v[92:93], v[72:73]
	;; [unrolled: 2-line block ×6, first 2 shown]
	v_lshlrev_b32_e32 v0, 30, v5
	v_and_b32_e32 v5, 1, v5
	v_fmac_f64_e32 v[92:93], v[86:87], v[10:11]
	v_cmp_eq_u32_e64 s[4:5], 0, v5
	v_cndmask_b32_e64 v5, 0, 1, s[48:49]
	v_fma_f64 v[10:11], v[86:87], v[92:93], 1.0
	v_cmp_gt_i64_e32 vcc, s[24:25], v[14:15]
	v_cmp_ne_u32_e64 s[0:1], 1, v5
	s_and_saveexec_b64 s[6:7], vcc
	s_cbranch_execz .LBB13_35
; %bb.20:                               ;   in Loop: Header=BB13_9 Depth=1
	s_and_b64 vcc, exec, s[0:1]
	s_cbranch_vccnz .LBB13_26
; %bb.21:                               ;   in Loop: Header=BB13_9 Depth=1
	s_andn2_b64 vcc, exec, s[50:51]
	s_cbranch_vccnz .LBB13_27
; %bb.22:                               ;   in Loop: Header=BB13_9 Depth=1
	s_mov_b32 s18, 0
	s_andn2_b64 vcc, exec, s[62:63]
	v_mov_b32_e32 v86, 0
	s_cbranch_vccnz .LBB13_28
; %bb.23:                               ;   in Loop: Header=BB13_9 Depth=1
	s_mov_b32 s95, 0
	v_mov_b32_e32 v86, 0
	s_mov_b64 s[86:87], s[46:47]
	s_mov_b64 s[88:89], s[52:53]
	v_mov_b32_e32 v5, v14
.LBB13_24:                              ;   Parent Loop BB13_9 Depth=1
                                        ; =>  This Inner Loop Header: Depth=2
	s_load_dwordx8 s[16:23], s[86:87], 0x4
	s_load_dwordx4 s[36:39], s[86:87], 0x24
	s_load_dwordx4 s[40:43], s[88:89], 0x0
	s_add_u32 s86, s86, 48
	s_addc_u32 s87, s87, 0
	s_waitcnt lgkmcnt(0)
	v_mul_hi_u32 v39, s17, v5
	v_add_u32_e32 v39, v5, v39
	v_lshrrev_b32_e32 v39, s18, v39
	v_mul_lo_u32 v41, v39, s16
	v_mul_hi_u32 v43, s20, v39
	v_sub_u32_e32 v5, v5, v41
	v_add_u32_e32 v41, v39, v43
	v_lshrrev_b32_e32 v41, s21, v41
	v_mul_lo_u32 v43, v41, s19
	v_mul_hi_u32 v45, s23, v41
	v_sub_u32_e32 v39, v39, v43
	v_add_u32_e32 v43, v41, v45
	v_mul_lo_u32 v5, v5, s40
	v_mul_lo_u32 v39, v39, s41
	v_lshrrev_b32_e32 v43, s36, v43
	v_add3_u32 v39, v5, v86, v39
	v_mul_lo_u32 v5, v43, s22
	v_mul_hi_u32 v45, s38, v43
	v_sub_u32_e32 v5, v41, v5
	v_add_u32_e32 v41, v43, v45
	v_mul_lo_u32 v45, v5, s42
	v_lshrrev_b32_e32 v5, s39, v41
	s_add_i32 s95, s95, 4
	v_mul_lo_u32 v41, v5, s37
	s_add_u32 s88, s88, 16
	v_sub_u32_e32 v41, v43, v41
	s_addc_u32 s89, s89, 0
	v_mul_lo_u32 v41, v41, s43
	s_cmp_lg_u32 s92, s95
	v_add3_u32 v86, v45, v39, v41
	s_cbranch_scc1 .LBB13_24
; %bb.25:                               ;   in Loop: Header=BB13_9 Depth=1
	s_mov_b32 s18, s92
	s_andn2_b64 vcc, exec, s[66:67]
	s_cbranch_vccz .LBB13_29
	s_branch .LBB13_31
.LBB13_26:                              ;   in Loop: Header=BB13_9 Depth=1
                                        ; implicit-def: $vgpr86
	s_branch .LBB13_32
.LBB13_27:                              ;   in Loop: Header=BB13_9 Depth=1
	v_mov_b32_e32 v86, 0
	s_branch .LBB13_31
.LBB13_28:                              ;   in Loop: Header=BB13_9 Depth=1
	v_mov_b32_e32 v5, v14
	s_andn2_b64 vcc, exec, s[66:67]
	s_cbranch_vccnz .LBB13_31
.LBB13_29:                              ;   in Loop: Header=BB13_9 Depth=1
	s_lshl_b32 s16, s18, 2
	s_add_u32 s16, s52, s16
	s_addc_u32 s17, s53, 0
	s_mul_i32 s18, s18, 12
	s_add_u32 s18, s46, s18
	s_addc_u32 s19, s47, 0
	s_mov_b32 s20, s91
.LBB13_30:                              ;   Parent Loop BB13_9 Depth=1
                                        ; =>  This Inner Loop Header: Depth=2
	s_load_dwordx2 s[22:23], s[18:19], 0x4
	s_load_dword s21, s[18:19], 0xc
	s_load_dword s36, s[16:17], 0x0
	s_add_u32 s18, s18, 12
	s_addc_u32 s19, s19, 0
	s_waitcnt lgkmcnt(0)
	v_mul_hi_u32 v39, s23, v5
	v_add_u32_e32 v39, v5, v39
	v_lshrrev_b32_e32 v39, s21, v39
	s_add_u32 s16, s16, 4
	v_mul_lo_u32 v41, v39, s22
	s_addc_u32 s17, s17, 0
	s_add_i32 s20, s20, -1
	v_sub_u32_e32 v41, v5, v41
	s_cmp_lg_u32 s20, 0
	v_mov_b32_e32 v5, v39
	v_mad_u64_u32 v[86:87], s[22:23], v41, s36, v[86:87]
	s_cbranch_scc1 .LBB13_30
.LBB13_31:                              ;   in Loop: Header=BB13_9 Depth=1
	s_cbranch_execnz .LBB13_34
.LBB13_32:                              ;   in Loop: Header=BB13_9 Depth=1
	v_mul_hi_u32 v5, v14, s10
	v_add_u32_e32 v5, v5, v14
	v_lshrrev_b32_e32 v5, s11, v5
	v_mul_lo_u32 v39, v5, s9
	v_sub_u32_e32 v39, v14, v39
	s_andn2_b64 vcc, exec, s[54:55]
	s_waitcnt lgkmcnt(0)
	v_mul_lo_u32 v86, v39, s56
	s_cbranch_vccnz .LBB13_34
; %bb.33:                               ;   in Loop: Header=BB13_9 Depth=1
	v_mul_hi_u32 v39, s8, v5
	v_add_u32_e32 v39, v5, v39
	v_lshrrev_b32_e32 v39, s14, v39
	v_mul_lo_u32 v39, v39, s12
	v_sub_u32_e32 v5, v5, v39
	v_mad_u64_u32 v[86:87], s[16:17], v5, s57, v[86:87]
.LBB13_34:                              ;   in Loop: Header=BB13_9 Depth=1
	v_xor_b32_e32 v41, v0, v85
	v_cndmask_b32_e64 v39, v11, v9, s[4:5]
	v_and_b32_e32 v41, 0x80000000, v41
	v_cndmask_b32_e64 v5, v10, v8, s[4:5]
	v_xor_b32_e32 v39, v39, v41
	v_cndmask_b32_e64 v84, 0, v5, s[2:3]
	v_cndmask_b32_e64 v85, v29, v39, s[2:3]
	v_mul_f64 v[84:85], v[6:7], v[84:85]
	v_cvt_f32_f64_e32 v5, v[84:85]
	s_waitcnt lgkmcnt(0)
	v_mov_b32_e32 v39, s30
	v_fma_f32 v5, s31, v5, v39
	v_mul_f32_e32 v39, 0x3fb8aa3b, v5
	v_fma_f32 v41, v5, s13, -v39
	v_rndne_f32_e32 v43, v39
	v_fmac_f32_e32 v41, 0x32a5705f, v5
	v_sub_f32_e32 v39, v39, v43
	v_add_f32_e32 v39, v39, v41
	v_exp_f32_e32 v39, v39
	v_cvt_i32_f32_e32 v41, v43
	v_cmp_ngt_f32_e32 vcc, s93, v5
	v_ldexp_f32 v39, v39, v41
	s_nop 0
	v_cndmask_b32_e32 v39, 0, v39, vcc
	v_cmp_nlt_f32_e32 vcc, s94, v5
	s_nop 1
	v_cndmask_b32_e32 v5, v31, v39, vcc
	v_bfe_u32 v39, v5, 16, 1
	v_add3_u32 v39, v5, v39, s15
	v_lshrrev_b32_e32 v39, 16, v39
	v_cmp_o_f32_e32 vcc, v5, v5
	s_nop 1
	v_cndmask_b32_e32 v5, v33, v39, vcc
	global_store_short v86, v5, s[28:29]
.LBB13_35:                              ;   in Loop: Header=BB13_9 Depth=1
	s_or_b64 exec, exec, s[6:7]
	v_lshl_add_u64 v[86:87], v[14:15], 0, s[26:27]
	v_cmp_gt_i64_e32 vcc, s[24:25], v[86:87]
	s_and_saveexec_b64 s[6:7], vcc
	s_cbranch_execz .LBB13_51
; %bb.36:                               ;   in Loop: Header=BB13_9 Depth=1
	s_and_b64 vcc, exec, s[0:1]
	s_cbranch_vccnz .LBB13_42
; %bb.37:                               ;   in Loop: Header=BB13_9 Depth=1
	s_andn2_b64 vcc, exec, s[50:51]
	s_cbranch_vccnz .LBB13_43
; %bb.38:                               ;   in Loop: Header=BB13_9 Depth=1
	s_mov_b32 s18, 0
	s_andn2_b64 vcc, exec, s[62:63]
	v_mov_b32_e32 v84, 0
	s_cbranch_vccnz .LBB13_44
; %bb.39:                               ;   in Loop: Header=BB13_9 Depth=1
	s_mov_b32 s95, 0
	v_mov_b32_e32 v84, 0
	s_mov_b64 s[86:87], s[46:47]
	s_mov_b64 s[88:89], s[52:53]
	v_mov_b32_e32 v5, v86
.LBB13_40:                              ;   Parent Loop BB13_9 Depth=1
                                        ; =>  This Inner Loop Header: Depth=2
	s_load_dwordx8 s[16:23], s[86:87], 0x4
	s_load_dwordx4 s[36:39], s[86:87], 0x24
	s_load_dwordx4 s[40:43], s[88:89], 0x0
	s_add_u32 s86, s86, 48
	s_addc_u32 s87, s87, 0
	s_waitcnt lgkmcnt(0)
	v_mul_hi_u32 v39, s17, v5
	v_add_u32_e32 v39, v5, v39
	v_lshrrev_b32_e32 v39, s18, v39
	v_mul_lo_u32 v41, v39, s16
	v_mul_hi_u32 v43, s20, v39
	v_sub_u32_e32 v5, v5, v41
	v_add_u32_e32 v41, v39, v43
	v_lshrrev_b32_e32 v41, s21, v41
	v_mul_lo_u32 v43, v41, s19
	v_mul_hi_u32 v45, s23, v41
	v_sub_u32_e32 v39, v39, v43
	v_add_u32_e32 v43, v41, v45
	v_mul_lo_u32 v5, v5, s40
	v_mul_lo_u32 v39, v39, s41
	v_lshrrev_b32_e32 v43, s36, v43
	v_add3_u32 v39, v5, v84, v39
	v_mul_lo_u32 v5, v43, s22
	v_mul_hi_u32 v45, s38, v43
	v_sub_u32_e32 v5, v41, v5
	v_add_u32_e32 v41, v43, v45
	v_mul_lo_u32 v45, v5, s42
	v_lshrrev_b32_e32 v5, s39, v41
	s_add_i32 s95, s95, 4
	v_mul_lo_u32 v41, v5, s37
	s_add_u32 s88, s88, 16
	v_sub_u32_e32 v41, v43, v41
	s_addc_u32 s89, s89, 0
	v_mul_lo_u32 v41, v41, s43
	s_cmp_eq_u32 s92, s95
	v_add3_u32 v84, v45, v39, v41
	s_cbranch_scc0 .LBB13_40
; %bb.41:                               ;   in Loop: Header=BB13_9 Depth=1
	s_mov_b32 s18, s92
	s_andn2_b64 vcc, exec, s[66:67]
	s_cbranch_vccz .LBB13_45
	s_branch .LBB13_47
.LBB13_42:                              ;   in Loop: Header=BB13_9 Depth=1
                                        ; implicit-def: $vgpr84
	s_branch .LBB13_48
.LBB13_43:                              ;   in Loop: Header=BB13_9 Depth=1
	v_mov_b32_e32 v84, 0
	s_branch .LBB13_47
.LBB13_44:                              ;   in Loop: Header=BB13_9 Depth=1
	v_mov_b32_e32 v5, v86
	s_andn2_b64 vcc, exec, s[66:67]
	s_cbranch_vccnz .LBB13_47
.LBB13_45:                              ;   in Loop: Header=BB13_9 Depth=1
	s_lshl_b32 s16, s18, 2
	s_add_u32 s16, s52, s16
	s_addc_u32 s17, s53, 0
	s_mul_i32 s18, s18, 12
	s_add_u32 s18, s46, s18
	s_addc_u32 s19, s47, 0
	s_mov_b32 s20, s91
.LBB13_46:                              ;   Parent Loop BB13_9 Depth=1
                                        ; =>  This Inner Loop Header: Depth=2
	s_load_dwordx2 s[22:23], s[18:19], 0x4
	s_load_dword s21, s[18:19], 0xc
	s_load_dword s36, s[16:17], 0x0
	s_add_u32 s18, s18, 12
	s_addc_u32 s19, s19, 0
	s_waitcnt lgkmcnt(0)
	v_mul_hi_u32 v39, s23, v5
	v_add_u32_e32 v39, v5, v39
	v_lshrrev_b32_e32 v39, s21, v39
	s_add_u32 s16, s16, 4
	v_mul_lo_u32 v41, v39, s22
	s_addc_u32 s17, s17, 0
	s_add_i32 s20, s20, -1
	v_sub_u32_e32 v41, v5, v41
	s_cmp_lg_u32 s20, 0
	v_mov_b32_e32 v5, v39
	v_mad_u64_u32 v[84:85], s[22:23], v41, s36, v[84:85]
	s_cbranch_scc1 .LBB13_46
.LBB13_47:                              ;   in Loop: Header=BB13_9 Depth=1
	s_cbranch_execnz .LBB13_50
.LBB13_48:                              ;   in Loop: Header=BB13_9 Depth=1
	v_mul_hi_u32 v5, v86, s10
	v_add_u32_e32 v5, v5, v86
	v_lshrrev_b32_e32 v5, s11, v5
	v_mul_lo_u32 v39, v5, s9
	v_sub_u32_e32 v39, v86, v39
	s_andn2_b64 vcc, exec, s[54:55]
	s_waitcnt lgkmcnt(0)
	v_mul_lo_u32 v84, v39, s56
	s_cbranch_vccnz .LBB13_50
; %bb.49:                               ;   in Loop: Header=BB13_9 Depth=1
	v_mul_hi_u32 v39, s8, v5
	v_add_u32_e32 v39, v5, v39
	v_lshrrev_b32_e32 v39, s14, v39
	v_mul_lo_u32 v39, v39, s12
	v_sub_u32_e32 v5, v5, v39
	v_mad_u64_u32 v[84:85], s[16:17], v5, s57, v[84:85]
.LBB13_50:                              ;   in Loop: Header=BB13_9 Depth=1
	v_xor_b32_e32 v5, 0x80000000, v9
	v_and_b32_e32 v0, 0x80000000, v0
	v_cndmask_b32_e64 v5, v5, v11, s[4:5]
	v_cndmask_b32_e64 v8, v8, v10, s[4:5]
	v_xor_b32_e32 v0, v5, v0
	v_cndmask_b32_e64 v9, v29, v0, s[2:3]
	v_cndmask_b32_e64 v8, 0, v8, s[2:3]
	v_mul_f64 v[6:7], v[6:7], v[8:9]
	v_cvt_f32_f64_e32 v0, v[6:7]
	s_waitcnt lgkmcnt(0)
	v_mov_b32_e32 v5, s30
	v_fma_f32 v0, s31, v0, v5
	v_mul_f32_e32 v5, 0x3fb8aa3b, v0
	v_fma_f32 v6, v0, s13, -v5
	v_rndne_f32_e32 v7, v5
	v_fmac_f32_e32 v6, 0x32a5705f, v0
	v_sub_f32_e32 v5, v5, v7
	v_add_f32_e32 v5, v5, v6
	v_exp_f32_e32 v5, v5
	v_cvt_i32_f32_e32 v6, v7
	v_cmp_ngt_f32_e32 vcc, s93, v0
	v_ldexp_f32 v5, v5, v6
	s_nop 0
	v_cndmask_b32_e32 v5, 0, v5, vcc
	v_cmp_nlt_f32_e32 vcc, s94, v0
	s_nop 1
	v_cndmask_b32_e32 v0, v31, v5, vcc
	v_bfe_u32 v5, v0, 16, 1
	v_add3_u32 v5, v0, v5, s15
	v_lshrrev_b32_e32 v5, 16, v5
	v_cmp_o_f32_e32 vcc, v0, v0
	s_nop 1
	v_cndmask_b32_e32 v0, v33, v5, vcc
	global_store_short v84, v0, s[28:29]
.LBB13_51:                              ;   in Loop: Header=BB13_9 Depth=1
	s_or_b64 exec, exec, s[6:7]
	v_lshl_add_u64 v[6:7], v[14:15], 0, s[58:59]
	v_cmp_gt_i64_e32 vcc, s[24:25], v[6:7]
	s_and_saveexec_b64 s[2:3], vcc
	s_cbranch_execz .LBB13_67
; %bb.52:                               ;   in Loop: Header=BB13_9 Depth=1
	s_and_b64 vcc, exec, s[0:1]
	s_cbranch_vccnz .LBB13_58
; %bb.53:                               ;   in Loop: Header=BB13_9 Depth=1
	s_andn2_b64 vcc, exec, s[50:51]
	s_cbranch_vccnz .LBB13_59
; %bb.54:                               ;   in Loop: Header=BB13_9 Depth=1
	s_mov_b32 s6, 0
	s_andn2_b64 vcc, exec, s[62:63]
	v_mov_b32_e32 v8, 0
	s_cbranch_vccnz .LBB13_60
; %bb.55:                               ;   in Loop: Header=BB13_9 Depth=1
	s_mov_b32 s86, 0
	v_mov_b32_e32 v8, 0
	s_mov_b64 s[40:41], s[46:47]
	s_mov_b64 s[42:43], s[52:53]
	v_mov_b32_e32 v0, v6
.LBB13_56:                              ;   Parent Loop BB13_9 Depth=1
                                        ; =>  This Inner Loop Header: Depth=2
	s_load_dwordx8 s[16:23], s[40:41], 0x4
	s_load_dwordx4 s[4:7], s[40:41], 0x24
	s_load_dwordx4 s[36:39], s[42:43], 0x0
	s_add_u32 s40, s40, 48
	s_addc_u32 s41, s41, 0
	s_waitcnt lgkmcnt(0)
	v_mul_hi_u32 v5, s17, v0
	v_add_u32_e32 v5, v0, v5
	v_lshrrev_b32_e32 v5, s18, v5
	v_mul_lo_u32 v7, v5, s16
	v_mul_hi_u32 v9, s20, v5
	v_sub_u32_e32 v0, v0, v7
	v_add_u32_e32 v7, v5, v9
	v_lshrrev_b32_e32 v7, s21, v7
	v_mul_lo_u32 v9, v7, s19
	v_mul_hi_u32 v10, s23, v7
	v_sub_u32_e32 v5, v5, v9
	v_add_u32_e32 v9, v7, v10
	v_mul_lo_u32 v0, v0, s36
	v_mul_lo_u32 v5, v5, s37
	v_lshrrev_b32_e32 v9, s4, v9
	v_add3_u32 v5, v0, v8, v5
	v_mul_lo_u32 v0, v9, s22
	v_mul_hi_u32 v8, s6, v9
	v_sub_u32_e32 v0, v7, v0
	v_add_u32_e32 v7, v9, v8
	v_mul_lo_u32 v8, v0, s38
	v_lshrrev_b32_e32 v0, s7, v7
	s_add_i32 s86, s86, 4
	v_mul_lo_u32 v7, v0, s5
	s_add_u32 s42, s42, 16
	v_sub_u32_e32 v7, v9, v7
	s_addc_u32 s43, s43, 0
	v_mul_lo_u32 v7, v7, s39
	s_cmp_eq_u32 s92, s86
	v_add3_u32 v8, v8, v5, v7
	s_cbranch_scc0 .LBB13_56
; %bb.57:                               ;   in Loop: Header=BB13_9 Depth=1
	s_mov_b32 s6, s92
	s_andn2_b64 vcc, exec, s[66:67]
	s_cbranch_vccz .LBB13_61
	s_branch .LBB13_63
.LBB13_58:                              ;   in Loop: Header=BB13_9 Depth=1
                                        ; implicit-def: $vgpr8
	s_branch .LBB13_64
.LBB13_59:                              ;   in Loop: Header=BB13_9 Depth=1
	v_mov_b32_e32 v8, 0
	s_branch .LBB13_63
.LBB13_60:                              ;   in Loop: Header=BB13_9 Depth=1
	v_mov_b32_e32 v0, v6
	s_andn2_b64 vcc, exec, s[66:67]
	s_cbranch_vccnz .LBB13_63
.LBB13_61:                              ;   in Loop: Header=BB13_9 Depth=1
	s_lshl_b32 s4, s6, 2
	s_add_u32 s4, s52, s4
	s_addc_u32 s5, s53, 0
	s_mul_i32 s6, s6, 12
	s_add_u32 s6, s46, s6
	s_addc_u32 s7, s47, 0
	s_mov_b32 s16, s91
.LBB13_62:                              ;   Parent Loop BB13_9 Depth=1
                                        ; =>  This Inner Loop Header: Depth=2
	s_load_dwordx2 s[18:19], s[6:7], 0x4
	s_load_dword s17, s[6:7], 0xc
	s_load_dword s20, s[4:5], 0x0
	s_add_u32 s6, s6, 12
	s_addc_u32 s7, s7, 0
	s_waitcnt lgkmcnt(0)
	v_mul_hi_u32 v5, s19, v0
	v_add_u32_e32 v5, v0, v5
	v_lshrrev_b32_e32 v5, s17, v5
	s_add_u32 s4, s4, 4
	v_mul_lo_u32 v7, v5, s18
	s_addc_u32 s5, s5, 0
	s_add_i32 s16, s16, -1
	v_sub_u32_e32 v7, v0, v7
	s_cmp_lg_u32 s16, 0
	v_mov_b32_e32 v0, v5
	v_mad_u64_u32 v[8:9], s[18:19], v7, s20, v[8:9]
	s_cbranch_scc1 .LBB13_62
.LBB13_63:                              ;   in Loop: Header=BB13_9 Depth=1
	s_cbranch_execnz .LBB13_66
.LBB13_64:                              ;   in Loop: Header=BB13_9 Depth=1
	v_mul_hi_u32 v0, v6, s10
	v_add_u32_e32 v0, v0, v6
	v_lshrrev_b32_e32 v0, s11, v0
	v_mul_lo_u32 v5, v0, s9
	v_sub_u32_e32 v5, v6, v5
	s_andn2_b64 vcc, exec, s[54:55]
	s_waitcnt lgkmcnt(0)
	v_mul_lo_u32 v8, v5, s56
	s_cbranch_vccnz .LBB13_66
; %bb.65:                               ;   in Loop: Header=BB13_9 Depth=1
	v_mul_hi_u32 v5, s8, v0
	v_add_u32_e32 v5, v0, v5
	v_lshrrev_b32_e32 v5, s14, v5
	v_mul_lo_u32 v5, v5, s12
	v_sub_u32_e32 v0, v0, v5
	v_mad_u64_u32 v[8:9], s[4:5], v0, s57, v[8:9]
.LBB13_66:                              ;   in Loop: Header=BB13_9 Depth=1
	s_waitcnt lgkmcnt(0)
	global_store_short v8, v21, s[28:29]
.LBB13_67:                              ;   in Loop: Header=BB13_9 Depth=1
	s_or_b64 exec, exec, s[2:3]
	v_lshl_add_u64 v[6:7], v[14:15], 0, s[60:61]
	v_cmp_gt_i64_e32 vcc, s[24:25], v[6:7]
	s_and_saveexec_b64 s[36:37], vcc
	s_cbranch_execz .LBB13_8
; %bb.68:                               ;   in Loop: Header=BB13_9 Depth=1
	s_and_b64 vcc, exec, s[0:1]
	s_cbranch_vccnz .LBB13_74
; %bb.69:                               ;   in Loop: Header=BB13_9 Depth=1
	s_andn2_b64 vcc, exec, s[50:51]
	s_cbranch_vccnz .LBB13_75
; %bb.70:                               ;   in Loop: Header=BB13_9 Depth=1
	s_mov_b32 s2, 0
	s_andn2_b64 vcc, exec, s[62:63]
	v_mov_b32_e32 v8, 0
	s_cbranch_vccnz .LBB13_76
; %bb.71:                               ;   in Loop: Header=BB13_9 Depth=1
	s_mov_b32 s42, 0
	v_mov_b32_e32 v8, 0
	s_mov_b64 s[38:39], s[46:47]
	s_mov_b64 s[40:41], s[52:53]
	v_mov_b32_e32 v0, v6
.LBB13_72:                              ;   Parent Loop BB13_9 Depth=1
                                        ; =>  This Inner Loop Header: Depth=2
	s_load_dwordx8 s[0:7], s[38:39], 0x4
	s_load_dwordx4 s[16:19], s[38:39], 0x24
	s_load_dwordx4 s[20:23], s[40:41], 0x0
	s_add_u32 s38, s38, 48
	s_addc_u32 s39, s39, 0
	s_waitcnt lgkmcnt(0)
	v_mul_hi_u32 v5, s1, v0
	v_add_u32_e32 v5, v0, v5
	v_lshrrev_b32_e32 v5, s2, v5
	v_mul_lo_u32 v7, v5, s0
	v_mul_hi_u32 v9, s4, v5
	v_sub_u32_e32 v0, v0, v7
	v_add_u32_e32 v7, v5, v9
	v_lshrrev_b32_e32 v7, s5, v7
	v_mul_lo_u32 v9, v7, s3
	v_mul_hi_u32 v10, s7, v7
	v_sub_u32_e32 v5, v5, v9
	v_add_u32_e32 v9, v7, v10
	v_mul_lo_u32 v0, v0, s20
	v_mul_lo_u32 v5, v5, s21
	v_lshrrev_b32_e32 v9, s16, v9
	v_add3_u32 v5, v0, v8, v5
	v_mul_lo_u32 v0, v9, s6
	v_mul_hi_u32 v8, s18, v9
	v_sub_u32_e32 v0, v7, v0
	v_add_u32_e32 v7, v9, v8
	v_mul_lo_u32 v8, v0, s22
	v_lshrrev_b32_e32 v0, s19, v7
	s_add_i32 s42, s42, 4
	v_mul_lo_u32 v7, v0, s17
	s_add_u32 s40, s40, 16
	v_sub_u32_e32 v7, v9, v7
	s_addc_u32 s41, s41, 0
	v_mul_lo_u32 v7, v7, s23
	s_cmp_eq_u32 s92, s42
	v_add3_u32 v8, v8, v5, v7
	s_cbranch_scc0 .LBB13_72
; %bb.73:                               ;   in Loop: Header=BB13_9 Depth=1
	s_mov_b32 s2, s92
	s_andn2_b64 vcc, exec, s[66:67]
	s_cbranch_vccz .LBB13_77
	s_branch .LBB13_79
.LBB13_74:                              ;   in Loop: Header=BB13_9 Depth=1
                                        ; implicit-def: $vgpr8
	s_branch .LBB13_80
.LBB13_75:                              ;   in Loop: Header=BB13_9 Depth=1
	v_mov_b32_e32 v8, 0
	s_branch .LBB13_79
.LBB13_76:                              ;   in Loop: Header=BB13_9 Depth=1
	v_mov_b32_e32 v0, v6
	s_andn2_b64 vcc, exec, s[66:67]
	s_cbranch_vccnz .LBB13_79
.LBB13_77:                              ;   in Loop: Header=BB13_9 Depth=1
	s_lshl_b32 s0, s2, 2
	s_add_u32 s0, s52, s0
	s_addc_u32 s1, s53, 0
	s_mul_i32 s2, s2, 12
	s_add_u32 s2, s46, s2
	s_addc_u32 s3, s47, 0
	s_mov_b32 s4, s91
.LBB13_78:                              ;   Parent Loop BB13_9 Depth=1
                                        ; =>  This Inner Loop Header: Depth=2
	s_load_dwordx2 s[6:7], s[2:3], 0x4
	s_load_dword s5, s[2:3], 0xc
	s_load_dword s16, s[0:1], 0x0
	s_add_u32 s2, s2, 12
	s_addc_u32 s3, s3, 0
	s_waitcnt lgkmcnt(0)
	v_mul_hi_u32 v5, s7, v0
	v_add_u32_e32 v5, v0, v5
	v_lshrrev_b32_e32 v5, s5, v5
	s_add_u32 s0, s0, 4
	v_mul_lo_u32 v7, v5, s6
	s_addc_u32 s1, s1, 0
	s_add_i32 s4, s4, -1
	v_sub_u32_e32 v7, v0, v7
	s_cmp_lg_u32 s4, 0
	v_mov_b32_e32 v0, v5
	v_mad_u64_u32 v[8:9], s[6:7], v7, s16, v[8:9]
	s_cbranch_scc1 .LBB13_78
.LBB13_79:                              ;   in Loop: Header=BB13_9 Depth=1
	s_cbranch_execnz .LBB13_7
.LBB13_80:                              ;   in Loop: Header=BB13_9 Depth=1
	v_mul_hi_u32 v0, v6, s10
	v_add_u32_e32 v0, v0, v6
	v_lshrrev_b32_e32 v0, s11, v0
	v_mul_lo_u32 v5, v0, s9
	v_sub_u32_e32 v5, v6, v5
	s_andn2_b64 vcc, exec, s[54:55]
	s_waitcnt lgkmcnt(0)
	v_mul_lo_u32 v8, v5, s56
	s_cbranch_vccnz .LBB13_7
; %bb.81:                               ;   in Loop: Header=BB13_9 Depth=1
	v_mul_hi_u32 v5, s8, v0
	v_add_u32_e32 v5, v0, v5
	v_lshrrev_b32_e32 v5, s14, v5
	v_mul_lo_u32 v5, v5, s12
	v_sub_u32_e32 v0, v0, v5
	v_mad_u64_u32 v[8:9], s[0:1], v0, s57, v[8:9]
	s_branch .LBB13_7
.LBB13_82:
	s_endpgm
.LBB13_83:
                                        ; implicit-def: $sgpr6_sgpr7
	s_andn2_b64 vcc, exec, s[4:5]
	s_cbranch_vccz .LBB13_4
	s_branch .LBB13_5
	.section	.rodata,"a",@progbits
	.p2align	6, 0x0
	.amdhsa_kernel _ZN2at6native12_GLOBAL__N_143distribution_elementwise_grid_stride_kernelIfLi4EZNS0_9templates4cuda20normal_and_transformIN3c108BFloat16EfPNS_17CUDAGeneratorImplEZZZNS4_17log_normal_kernelIS9_EEvRNS_18TensorIteratorBaseEddT_ENKUlvE_clEvENKUlvE2_clEvEUlfE_EEvSC_T1_T2_EUlP25hiprandStatePhilox4_32_10E_ZNS1_27distribution_nullary_kernelIS7_f15HIP_vector_typeIdLj2EES9_SL_SG_EEvSC_SI_RKT3_T4_EUlifE0_EEvlNS_15PhiloxCudaStateESH_SI_
		.amdhsa_group_segment_fixed_size 0
		.amdhsa_private_segment_fixed_size 0
		.amdhsa_kernarg_size 584
		.amdhsa_user_sgpr_count 2
		.amdhsa_user_sgpr_dispatch_ptr 0
		.amdhsa_user_sgpr_queue_ptr 0
		.amdhsa_user_sgpr_kernarg_segment_ptr 1
		.amdhsa_user_sgpr_dispatch_id 0
		.amdhsa_user_sgpr_kernarg_preload_length 0
		.amdhsa_user_sgpr_kernarg_preload_offset 0
		.amdhsa_user_sgpr_private_segment_size 0
		.amdhsa_uses_dynamic_stack 0
		.amdhsa_enable_private_segment 0
		.amdhsa_system_sgpr_workgroup_id_x 1
		.amdhsa_system_sgpr_workgroup_id_y 0
		.amdhsa_system_sgpr_workgroup_id_z 0
		.amdhsa_system_sgpr_workgroup_info 0
		.amdhsa_system_vgpr_workitem_id 0
		.amdhsa_next_free_vgpr 102
		.amdhsa_next_free_sgpr 96
		.amdhsa_accum_offset 104
		.amdhsa_reserve_vcc 1
		.amdhsa_float_round_mode_32 0
		.amdhsa_float_round_mode_16_64 0
		.amdhsa_float_denorm_mode_32 3
		.amdhsa_float_denorm_mode_16_64 3
		.amdhsa_dx10_clamp 1
		.amdhsa_ieee_mode 1
		.amdhsa_fp16_overflow 0
		.amdhsa_tg_split 0
		.amdhsa_exception_fp_ieee_invalid_op 0
		.amdhsa_exception_fp_denorm_src 0
		.amdhsa_exception_fp_ieee_div_zero 0
		.amdhsa_exception_fp_ieee_overflow 0
		.amdhsa_exception_fp_ieee_underflow 0
		.amdhsa_exception_fp_ieee_inexact 0
		.amdhsa_exception_int_div_zero 0
	.end_amdhsa_kernel
	.section	.text._ZN2at6native12_GLOBAL__N_143distribution_elementwise_grid_stride_kernelIfLi4EZNS0_9templates4cuda20normal_and_transformIN3c108BFloat16EfPNS_17CUDAGeneratorImplEZZZNS4_17log_normal_kernelIS9_EEvRNS_18TensorIteratorBaseEddT_ENKUlvE_clEvENKUlvE2_clEvEUlfE_EEvSC_T1_T2_EUlP25hiprandStatePhilox4_32_10E_ZNS1_27distribution_nullary_kernelIS7_f15HIP_vector_typeIdLj2EES9_SL_SG_EEvSC_SI_RKT3_T4_EUlifE0_EEvlNS_15PhiloxCudaStateESH_SI_,"axG",@progbits,_ZN2at6native12_GLOBAL__N_143distribution_elementwise_grid_stride_kernelIfLi4EZNS0_9templates4cuda20normal_and_transformIN3c108BFloat16EfPNS_17CUDAGeneratorImplEZZZNS4_17log_normal_kernelIS9_EEvRNS_18TensorIteratorBaseEddT_ENKUlvE_clEvENKUlvE2_clEvEUlfE_EEvSC_T1_T2_EUlP25hiprandStatePhilox4_32_10E_ZNS1_27distribution_nullary_kernelIS7_f15HIP_vector_typeIdLj2EES9_SL_SG_EEvSC_SI_RKT3_T4_EUlifE0_EEvlNS_15PhiloxCudaStateESH_SI_,comdat
.Lfunc_end13:
	.size	_ZN2at6native12_GLOBAL__N_143distribution_elementwise_grid_stride_kernelIfLi4EZNS0_9templates4cuda20normal_and_transformIN3c108BFloat16EfPNS_17CUDAGeneratorImplEZZZNS4_17log_normal_kernelIS9_EEvRNS_18TensorIteratorBaseEddT_ENKUlvE_clEvENKUlvE2_clEvEUlfE_EEvSC_T1_T2_EUlP25hiprandStatePhilox4_32_10E_ZNS1_27distribution_nullary_kernelIS7_f15HIP_vector_typeIdLj2EES9_SL_SG_EEvSC_SI_RKT3_T4_EUlifE0_EEvlNS_15PhiloxCudaStateESH_SI_, .Lfunc_end13-_ZN2at6native12_GLOBAL__N_143distribution_elementwise_grid_stride_kernelIfLi4EZNS0_9templates4cuda20normal_and_transformIN3c108BFloat16EfPNS_17CUDAGeneratorImplEZZZNS4_17log_normal_kernelIS9_EEvRNS_18TensorIteratorBaseEddT_ENKUlvE_clEvENKUlvE2_clEvEUlfE_EEvSC_T1_T2_EUlP25hiprandStatePhilox4_32_10E_ZNS1_27distribution_nullary_kernelIS7_f15HIP_vector_typeIdLj2EES9_SL_SG_EEvSC_SI_RKT3_T4_EUlifE0_EEvlNS_15PhiloxCudaStateESH_SI_
                                        ; -- End function
	.section	.AMDGPU.csdata,"",@progbits
; Kernel info:
; codeLenInByte = 6376
; NumSgprs: 102
; NumVgprs: 102
; NumAgprs: 0
; TotalNumVgprs: 102
; ScratchSize: 0
; MemoryBound: 0
; FloatMode: 240
; IeeeMode: 1
; LDSByteSize: 0 bytes/workgroup (compile time only)
; SGPRBlocks: 12
; VGPRBlocks: 12
; NumSGPRsForWavesPerEU: 102
; NumVGPRsForWavesPerEU: 102
; AccumOffset: 104
; Occupancy: 4
; WaveLimiterHint : 1
; COMPUTE_PGM_RSRC2:SCRATCH_EN: 0
; COMPUTE_PGM_RSRC2:USER_SGPR: 2
; COMPUTE_PGM_RSRC2:TRAP_HANDLER: 0
; COMPUTE_PGM_RSRC2:TGID_X_EN: 1
; COMPUTE_PGM_RSRC2:TGID_Y_EN: 0
; COMPUTE_PGM_RSRC2:TGID_Z_EN: 0
; COMPUTE_PGM_RSRC2:TIDIG_COMP_CNT: 0
; COMPUTE_PGM_RSRC3_GFX90A:ACCUM_OFFSET: 25
; COMPUTE_PGM_RSRC3_GFX90A:TG_SPLIT: 0
	.section	.text._ZN2at6native12_GLOBAL__N_143distribution_elementwise_grid_stride_kernelIfLi4EZNS0_9templates4cuda20normal_and_transformIN3c108BFloat16EfPNS_17CUDAGeneratorImplEZZZNS4_17log_normal_kernelIS9_EEvRNS_18TensorIteratorBaseEddT_ENKUlvE_clEvENKUlvE2_clEvEUlfE_EEvSC_T1_T2_EUlP25hiprandStatePhilox4_32_10E0_ZNS1_27distribution_nullary_kernelIS7_f15HIP_vector_typeIfLj4EES9_SL_SG_EEvSC_SI_RKT3_T4_EUlifE_EEvlNS_15PhiloxCudaStateESH_SI_,"axG",@progbits,_ZN2at6native12_GLOBAL__N_143distribution_elementwise_grid_stride_kernelIfLi4EZNS0_9templates4cuda20normal_and_transformIN3c108BFloat16EfPNS_17CUDAGeneratorImplEZZZNS4_17log_normal_kernelIS9_EEvRNS_18TensorIteratorBaseEddT_ENKUlvE_clEvENKUlvE2_clEvEUlfE_EEvSC_T1_T2_EUlP25hiprandStatePhilox4_32_10E0_ZNS1_27distribution_nullary_kernelIS7_f15HIP_vector_typeIfLj4EES9_SL_SG_EEvSC_SI_RKT3_T4_EUlifE_EEvlNS_15PhiloxCudaStateESH_SI_,comdat
	.globl	_ZN2at6native12_GLOBAL__N_143distribution_elementwise_grid_stride_kernelIfLi4EZNS0_9templates4cuda20normal_and_transformIN3c108BFloat16EfPNS_17CUDAGeneratorImplEZZZNS4_17log_normal_kernelIS9_EEvRNS_18TensorIteratorBaseEddT_ENKUlvE_clEvENKUlvE2_clEvEUlfE_EEvSC_T1_T2_EUlP25hiprandStatePhilox4_32_10E0_ZNS1_27distribution_nullary_kernelIS7_f15HIP_vector_typeIfLj4EES9_SL_SG_EEvSC_SI_RKT3_T4_EUlifE_EEvlNS_15PhiloxCudaStateESH_SI_ ; -- Begin function _ZN2at6native12_GLOBAL__N_143distribution_elementwise_grid_stride_kernelIfLi4EZNS0_9templates4cuda20normal_and_transformIN3c108BFloat16EfPNS_17CUDAGeneratorImplEZZZNS4_17log_normal_kernelIS9_EEvRNS_18TensorIteratorBaseEddT_ENKUlvE_clEvENKUlvE2_clEvEUlfE_EEvSC_T1_T2_EUlP25hiprandStatePhilox4_32_10E0_ZNS1_27distribution_nullary_kernelIS7_f15HIP_vector_typeIfLj4EES9_SL_SG_EEvSC_SI_RKT3_T4_EUlifE_EEvlNS_15PhiloxCudaStateESH_SI_
	.p2align	8
	.type	_ZN2at6native12_GLOBAL__N_143distribution_elementwise_grid_stride_kernelIfLi4EZNS0_9templates4cuda20normal_and_transformIN3c108BFloat16EfPNS_17CUDAGeneratorImplEZZZNS4_17log_normal_kernelIS9_EEvRNS_18TensorIteratorBaseEddT_ENKUlvE_clEvENKUlvE2_clEvEUlfE_EEvSC_T1_T2_EUlP25hiprandStatePhilox4_32_10E0_ZNS1_27distribution_nullary_kernelIS7_f15HIP_vector_typeIfLj4EES9_SL_SG_EEvSC_SI_RKT3_T4_EUlifE_EEvlNS_15PhiloxCudaStateESH_SI_,@function
_ZN2at6native12_GLOBAL__N_143distribution_elementwise_grid_stride_kernelIfLi4EZNS0_9templates4cuda20normal_and_transformIN3c108BFloat16EfPNS_17CUDAGeneratorImplEZZZNS4_17log_normal_kernelIS9_EEvRNS_18TensorIteratorBaseEddT_ENKUlvE_clEvENKUlvE2_clEvEUlfE_EEvSC_T1_T2_EUlP25hiprandStatePhilox4_32_10E0_ZNS1_27distribution_nullary_kernelIS7_f15HIP_vector_typeIfLj4EES9_SL_SG_EEvSC_SI_RKT3_T4_EUlifE_EEvlNS_15PhiloxCudaStateESH_SI_: ; @_ZN2at6native12_GLOBAL__N_143distribution_elementwise_grid_stride_kernelIfLi4EZNS0_9templates4cuda20normal_and_transformIN3c108BFloat16EfPNS_17CUDAGeneratorImplEZZZNS4_17log_normal_kernelIS9_EEvRNS_18TensorIteratorBaseEddT_ENKUlvE_clEvENKUlvE2_clEvEUlfE_EEvSC_T1_T2_EUlP25hiprandStatePhilox4_32_10E0_ZNS1_27distribution_nullary_kernelIS7_f15HIP_vector_typeIfLj4EES9_SL_SG_EEvSC_SI_RKT3_T4_EUlifE_EEvlNS_15PhiloxCudaStateESH_SI_
; %bb.0:
	s_load_dword s3, s[0:1], 0x20
	s_load_dwordx2 s[8:9], s[0:1], 0x10
	s_load_dwordx4 s[4:7], s[0:1], 0x0
	s_mov_b32 s13, 0
	s_waitcnt lgkmcnt(0)
	s_bitcmp0_b32 s3, 0
	v_mov_b64_e32 v[2:3], s[8:9]
	v_mov_b64_e32 v[14:15], s[6:7]
	s_cbranch_scc1 .LBB14_2
; %bb.1:
	v_mov_b64_e32 v[4:5], s[8:9]
	v_mov_b64_e32 v[2:3], s[6:7]
	flat_load_dwordx2 v[6:7], v[4:5]
	flat_load_dwordx2 v[14:15], v[2:3]
	s_load_dwordx2 s[6:7], s[0:1], 0x18
	s_waitcnt vmcnt(0) lgkmcnt(0)
	v_lshl_add_u64 v[2:3], v[6:7], 0, s[6:7]
.LBB14_2:
	s_load_dword s3, s[0:1], 0x54
	s_load_dword s22, s[0:1], 0x48
	s_mov_b32 s10, s13
	s_mov_b64 s[8:9], -1
	s_waitcnt lgkmcnt(0)
	s_and_b32 s3, s3, 0xffff
	s_add_u32 s7, s4, -1
	s_mul_i32 s6, s22, s3
	s_addc_u32 s11, s5, -1
	s_lshl_b32 s12, s6, 2
	s_cmp_lg_u64 s[10:11], 0
	s_cbranch_scc0 .LBB14_27
; %bb.3:
	v_cvt_f32_u32_e32 v1, s12
	v_cvt_f32_ubyte0_e32 v4, 0
	s_sub_u32 s10, 0, s12
	s_subb_u32 s14, 0, 0
	v_fmamk_f32 v1, v4, 0x4f800000, v1
	v_rcp_f32_e32 v1, v1
	s_nop 0
	v_mul_f32_e32 v1, 0x5f7ffffc, v1
	v_mul_f32_e32 v4, 0x2f800000, v1
	v_trunc_f32_e32 v4, v4
	v_fmamk_f32 v1, v4, 0xcf800000, v1
	v_cvt_u32_f32_e32 v4, v4
	v_cvt_u32_f32_e32 v1, v1
	v_readfirstlane_b32 s15, v4
	v_readfirstlane_b32 s16, v1
	s_mul_i32 s17, s10, s15
	s_mul_hi_u32 s19, s10, s16
	s_mul_i32 s18, s14, s16
	s_add_i32 s17, s19, s17
	s_add_i32 s17, s17, s18
	s_mul_i32 s20, s10, s16
	s_mul_hi_u32 s18, s16, s17
	s_mul_i32 s19, s16, s17
	s_mul_hi_u32 s16, s16, s20
	s_add_u32 s16, s16, s19
	s_addc_u32 s18, 0, s18
	s_mul_hi_u32 s21, s15, s20
	s_mul_i32 s20, s15, s20
	s_add_u32 s16, s16, s20
	s_mul_hi_u32 s19, s15, s17
	s_addc_u32 s16, s18, s21
	s_addc_u32 s18, s19, 0
	s_mul_i32 s17, s15, s17
	s_add_u32 s16, s16, s17
	s_addc_u32 s17, 0, s18
	v_add_co_u32_e32 v1, vcc, s16, v1
	s_cmp_lg_u64 vcc, 0
	s_addc_u32 s15, s15, s17
	v_readfirstlane_b32 s17, v1
	s_mul_i32 s16, s10, s15
	s_mul_hi_u32 s18, s10, s17
	s_add_i32 s16, s18, s16
	s_mul_i32 s14, s14, s17
	s_add_i32 s16, s16, s14
	s_mul_i32 s10, s10, s17
	s_mul_hi_u32 s18, s15, s10
	s_mul_i32 s19, s15, s10
	s_mul_i32 s21, s17, s16
	s_mul_hi_u32 s10, s17, s10
	s_mul_hi_u32 s20, s17, s16
	s_add_u32 s10, s10, s21
	s_addc_u32 s17, 0, s20
	s_add_u32 s10, s10, s19
	s_mul_hi_u32 s14, s15, s16
	s_addc_u32 s10, s17, s18
	s_addc_u32 s14, s14, 0
	s_mul_i32 s16, s15, s16
	s_add_u32 s10, s10, s16
	s_addc_u32 s14, 0, s14
	v_add_co_u32_e32 v1, vcc, s10, v1
	s_cmp_lg_u64 vcc, 0
	s_addc_u32 s16, s15, s14
	s_ashr_i32 s14, s11, 31
	s_add_u32 s10, s7, s14
	s_mov_b32 s15, s14
	s_addc_u32 s11, s11, s14
	s_xor_b64 s[10:11], s[10:11], s[14:15]
	v_readfirstlane_b32 s19, v1
	s_mul_i32 s18, s10, s16
	s_mul_hi_u32 s20, s10, s19
	s_mul_hi_u32 s17, s10, s16
	s_add_u32 s18, s20, s18
	s_addc_u32 s17, 0, s17
	s_mul_hi_u32 s21, s11, s19
	s_mul_i32 s19, s11, s19
	s_add_u32 s18, s18, s19
	s_mul_hi_u32 s20, s11, s16
	s_addc_u32 s17, s17, s21
	s_addc_u32 s18, s20, 0
	s_mul_i32 s16, s11, s16
	s_add_u32 s16, s17, s16
	s_addc_u32 s17, 0, s18
	s_add_u32 s18, s16, 1
	s_addc_u32 s19, s17, 0
	s_add_u32 s20, s16, 2
	s_mul_i32 s23, s12, s17
	s_mul_hi_u32 s24, s12, s16
	s_addc_u32 s21, s17, 0
	s_add_i32 s24, s24, s23
	s_mul_i32 s23, s12, s16
	v_mov_b32_e32 v1, s23
	v_sub_co_u32_e32 v1, vcc, s10, v1
	s_cmp_lg_u64 vcc, 0
	s_subb_u32 s10, s11, s24
	v_subrev_co_u32_e32 v4, vcc, s12, v1
	s_cmp_lg_u64 vcc, 0
	s_subb_u32 s11, s10, 0
	v_readfirstlane_b32 s23, v4
	s_cmp_ge_u32 s23, s12
	s_cselect_b32 s23, -1, 0
	s_cmp_eq_u32 s11, 0
	s_cselect_b32 s11, s23, -1
	s_cmp_lg_u32 s11, 0
	s_cselect_b32 s11, s21, s19
	v_readfirstlane_b32 s19, v1
	s_cselect_b32 s18, s20, s18
	s_cmp_ge_u32 s19, s12
	s_cselect_b32 s19, -1, 0
	s_cmp_eq_u32 s10, 0
	s_cselect_b32 s10, s19, -1
	s_cmp_lg_u32 s10, 0
	s_cselect_b32 s11, s11, s17
	s_cselect_b32 s10, s18, s16
	s_xor_b64 s[10:11], s[10:11], s[14:15]
	s_sub_u32 s10, s10, s14
	s_subb_u32 s11, s11, s14
	s_cbranch_execnz .LBB14_5
.LBB14_4:
	v_cvt_f32_u32_e32 v1, s12
	s_sub_i32 s8, 0, s12
	s_mov_b32 s11, 0
	v_rcp_iflag_f32_e32 v1, v1
	s_nop 0
	v_mul_f32_e32 v1, 0x4f7ffffe, v1
	v_cvt_u32_f32_e32 v1, v1
	s_nop 0
	v_readfirstlane_b32 s9, v1
	s_mul_i32 s8, s8, s9
	s_mul_hi_u32 s8, s9, s8
	s_add_i32 s9, s9, s8
	s_mul_hi_u32 s8, s7, s9
	s_mul_i32 s10, s8, s12
	s_sub_i32 s7, s7, s10
	s_add_i32 s9, s8, 1
	s_sub_i32 s10, s7, s12
	s_cmp_ge_u32 s7, s12
	s_cselect_b32 s8, s9, s8
	s_cselect_b32 s7, s10, s7
	s_add_i32 s9, s8, 1
	s_cmp_ge_u32 s7, s12
	s_cselect_b32 s10, s9, s8
.LBB14_5:
	v_mov_b32_e32 v1, 0
	v_mov_b32_e32 v4, s2
	v_mad_u64_u32 v[16:17], s[8:9], s3, v4, v[0:1]
	s_add_u32 s7, s10, 1
	s_addc_u32 s8, s11, 0
	s_mul_hi_u32 s9, s22, s3
	s_mul_i32 s8, s6, s8
	s_mul_hi_u32 s10, s6, s7
	s_add_i32 s8, s10, s8
	s_mul_i32 s9, s9, s7
	s_add_i32 s9, s8, s9
	s_mul_i32 s8, s6, s7
	s_lshl_b64 s[14:15], s[8:9], 2
	v_cmp_gt_i64_e32 vcc, s[14:15], v[16:17]
	s_and_saveexec_b64 s[8:9], vcc
	s_cbranch_execz .LBB14_26
; %bb.6:
	s_load_dwordx4 s[8:11], s[0:1], 0x38
	s_load_dwordx2 s[16:17], s[0:1], 0x30
	v_mov_b32_e32 v4, v15
	v_mov_b32_e32 v5, v1
	s_mov_b64 s[0:1], 0xdb3d7428
	v_lshl_add_u64 v[18:19], v[4:5], 0, s[0:1]
	s_mov_b64 s[0:1], 0x5384540f
	v_lshl_add_u64 v[20:21], v[14:15], 0, s[0:1]
	;; [unrolled: 2-line block ×7, first 2 shown]
	s_mov_b64 s[0:1], 0x9e3779b9
	v_alignbit_b32 v19, v3, v2, 2
	s_waitcnt lgkmcnt(0)
	s_mov_b32 s11, 0xd2511f53
	v_lshl_add_u64 v[32:33], v[14:15], 0, s[0:1]
	v_mad_u64_u32 v[6:7], s[0:1], v19, s11, 0
	v_xor_b32_e32 v1, v7, v15
	v_xor_b32_e32 v1, v1, v17
	s_mov_b32 s24, 0xcd9e8d57
	v_mad_u64_u32 v[8:9], s[0:1], v1, s24, 0
	v_xor_b32_e32 v1, v32, v9
	v_mad_u64_u32 v[10:11], s[0:1], v16, s24, 0
	v_and_b32_e32 v50, 3, v2
	v_xor_b32_e32 v1, v1, v10
	v_xor_b32_e32 v2, v14, v11
	v_lshrrev_b32_e32 v21, 2, v3
	v_mad_u64_u32 v[12:13], s[0:1], v1, s11, 0
	v_xor_b32_e32 v2, v2, v21
	v_xor_b32_e32 v1, v30, v13
	v_mad_u64_u32 v[2:3], s[0:1], v2, s11, 0
	v_xor_b32_e32 v1, v1, v2
	v_mad_u64_u32 v[10:11], s[0:1], v1, s24, 0
	s_mov_b64 s[0:1], 0xbb67ae85
	s_nop 0
	v_lshl_add_u64 v[34:35], v[4:5], 0, s[0:1]
	v_xor_b32_e32 v2, v34, v3
	v_xor_b32_e32 v2, v2, v6
	v_xor_b32_e32 v1, v28, v11
	v_mad_u64_u32 v[2:3], s[0:1], v2, s24, 0
	v_xor_b32_e32 v1, v1, v2
	v_mad_u64_u32 v[6:7], s[0:1], v1, s11, 0
	s_mov_b64 s[0:1], 0x3c6ef372
	s_nop 0
	v_lshl_add_u64 v[36:37], v[14:15], 0, s[0:1]
	v_xor_b32_e32 v2, v36, v3
	;; [unrolled: 9-line block ×7, first 2 shown]
	v_xor_b32_e32 v1, v1, v12
	v_mad_u64_u32 v[2:3], s[0:1], v1, s24, 0
	s_mov_b64 s[0:1], 0xf1bbcdc8
	v_add_u32_e32 v51, 0x8ff34781, v14
	v_xor_b32_e32 v1, v9, v2
	v_lshl_add_u64 v[48:49], v[14:15], 0, s[0:1]
	v_xor_b32_e32 v2, v51, v1
	v_xor_b32_e32 v1, v48, v3
	;; [unrolled: 1-line block ×3, first 2 shown]
	v_mad_u64_u32 v[10:11], s[0:1], v1, s11, 0
	v_add_u32_e32 v52, 0x96a522ad, v15
	v_xor_b32_e32 v1, v11, v6
	s_mul_i32 s0, s2, s3
	v_xor_b32_e32 v4, v52, v1
	v_add_u32_e32 v1, s0, v0
	s_mul_i32 s0, s22, s8
	s_mul_i32 s0, s0, s3
	s_lshl_b32 s25, s0, 2
	s_mul_i32 s0, s22, 3
	s_add_i32 s0, s2, s0
	s_mul_i32 s0, s0, s3
	v_mul_lo_u32 v23, s8, v1
	v_add_u32_e32 v1, s0, v0
	s_lshl_b32 s0, s22, 1
	s_add_i32 s0, s2, s0
	s_mul_i32 s0, s0, s3
	v_mul_lo_u32 v25, s8, v1
	v_add_u32_e32 v1, s0, v0
	s_add_i32 s0, s2, s22
	s_mul_i32 s0, s0, s3
	s_mov_b32 s7, 0
	v_add_u32_e32 v0, s0, v0
	v_mov_b32_e32 v3, v8
	v_mov_b32_e32 v5, v10
	s_lshl_b32 s18, s6, 1
	s_mov_b32 s19, s7
	s_mul_i32 s20, s6, 3
	s_mov_b32 s21, s7
	v_mul_lo_u32 v27, s8, v1
	v_mul_lo_u32 v29, s8, v0
	s_mov_b64 s[2:3], 0
	v_mov_b32_e32 v31, 0x2f800000
	v_mov_b32_e32 v33, 0x30c90fdb
	s_mov_b32 s8, 0x800000
	s_mov_b32 s26, 0x3f317217
	;; [unrolled: 1-line block ×4, first 2 shown]
	v_mov_b32_e32 v35, 0x260
	s_mov_b32 s29, 0x3fb8aa3b
	s_mov_b32 s30, 0xc2ce8ed0
	;; [unrolled: 1-line block ×3, first 2 shown]
	s_movk_i32 s33, 0x7fff
	v_mov_b32_e32 v37, 0x4f800000
	v_mov_b32_e32 v39, 0x41b17218
	;; [unrolled: 1-line block ×4, first 2 shown]
	s_mov_b32 s34, s7
	v_mov_b32_e32 v45, v16
	v_mov_b32_e32 v47, v17
	s_branch .LBB14_8
.LBB14_7:                               ;   in Loop: Header=BB14_8 Depth=1
	s_or_b64 exec, exec, s[0:1]
	v_lshl_add_u64 v[16:17], v[16:17], 0, s[12:13]
	v_mov_b32_e32 v9, v0
	s_add_i32 s34, s34, s25
	v_cmp_le_i64_e32 vcc, s[14:15], v[16:17]
	v_mov_b64_e32 v[2:3], v[6:7]
	s_or_b64 s[2:3], vcc, s[2:3]
	v_mov_b64_e32 v[4:5], v[8:9]
	s_barrier
	s_andn2_b64 exec, exec, s[2:3]
	s_cbranch_execz .LBB14_26
.LBB14_8:                               ; =>This Inner Loop Header: Depth=1
	v_add_co_u32_e32 v19, vcc, 1, v19
	s_nop 1
	v_cndmask_b32_e64 v0, 0, 1, vcc
	v_addc_co_u32_e32 v21, vcc, 0, v21, vcc
	v_cmp_eq_u32_e32 vcc, 0, v21
	s_nop 1
	v_cndmask_b32_e32 v0, 0, v0, vcc
	v_add_u32_e32 v45, v0, v45
	v_cmp_eq_u32_e32 vcc, 0, v45
	v_mad_u64_u32 v[6:7], s[0:1], v45, s24, 0
	s_nop 0
	v_cndmask_b32_e32 v0, 0, v0, vcc
	v_add_u32_e32 v47, v0, v47
	v_mad_u64_u32 v[0:1], s[0:1], v19, s11, 0
	v_xor_b32_e32 v1, v1, v15
	v_xor_b32_e32 v7, v7, v14
	v_xor_b32_e32 v1, v47, v1
	v_xor_b32_e32 v7, v21, v7
	v_mad_u64_u32 v[10:11], s[0:1], v1, s24, 0
	v_mad_u64_u32 v[8:9], s[0:1], v7, s11, 0
	v_xor_b32_e32 v1, v32, v11
	v_xor_b32_e32 v1, v1, v6
	v_xor_b32_e32 v6, v34, v9
	v_xor_b32_e32 v6, v6, v0
	v_mad_u64_u32 v[0:1], s[0:1], v1, s11, 0
	;; [unrolled: 6-line block ×9, first 2 shown]
	v_mad_u64_u32 v[12:13], s[0:1], v7, s24, 0
	v_xor_b32_e32 v1, v1, v54
	v_xor_b32_e32 v6, v13, v6
	;; [unrolled: 1-line block ×4, first 2 shown]
	v_mov_b32_e32 v7, v12
	v_mov_b32_e32 v8, v13
	v_cmp_lt_i32_e32 vcc, 1, v50
	s_and_saveexec_b64 s[0:1], vcc
	s_xor_b64 s[0:1], exec, s[0:1]
	s_cbranch_execz .LBB14_14
; %bb.9:                                ;   in Loop: Header=BB14_8 Depth=1
	v_cmp_lt_i32_e32 vcc, 2, v50
	s_and_saveexec_b64 s[22:23], vcc
	s_xor_b64 s[22:23], exec, s[22:23]
; %bb.10:                               ;   in Loop: Header=BB14_8 Depth=1
	v_mov_b32_e32 v10, v5
	v_mov_b32_e32 v11, v6
	v_mov_b64_e32 v[2:3], v[10:11]
	v_mov_b64_e32 v[4:5], v[12:13]
                                        ; implicit-def: $vgpr12_vgpr13
; %bb.11:                               ;   in Loop: Header=BB14_8 Depth=1
	s_andn2_saveexec_b64 s[22:23], s[22:23]
; %bb.12:                               ;   in Loop: Header=BB14_8 Depth=1
	v_mov_b32_e32 v2, v4
	v_mov_b32_e32 v3, v5
	;; [unrolled: 1-line block ×4, first 2 shown]
; %bb.13:                               ;   in Loop: Header=BB14_8 Depth=1
	s_or_b64 exec, exec, s[22:23]
.LBB14_14:                              ;   in Loop: Header=BB14_8 Depth=1
	s_andn2_saveexec_b64 s[0:1], s[0:1]
	s_cbranch_execz .LBB14_18
; %bb.15:                               ;   in Loop: Header=BB14_8 Depth=1
	v_cmp_eq_u32_e32 vcc, 1, v50
	s_and_saveexec_b64 s[22:23], vcc
; %bb.16:                               ;   in Loop: Header=BB14_8 Depth=1
	v_mov_b32_e32 v2, v3
	v_mov_b32_e32 v3, v4
	;; [unrolled: 1-line block ×4, first 2 shown]
; %bb.17:                               ;   in Loop: Header=BB14_8 Depth=1
	s_or_b64 exec, exec, s[22:23]
.LBB14_18:                              ;   in Loop: Header=BB14_8 Depth=1
	s_or_b64 exec, exec, s[0:1]
	v_cvt_f32_u32_e32 v1, v2
	v_fmamk_f32 v1, v1, 0x2f800000, v31
	v_cmp_gt_f32_e32 vcc, s8, v1
	s_nop 1
	v_cndmask_b32_e32 v2, 1.0, v37, vcc
	v_mul_f32_e32 v1, v1, v2
	v_log_f32_e32 v1, v1
	v_cvt_f32_u32_e32 v2, v3
	v_cndmask_b32_e32 v3, 0, v39, vcc
	v_mul_f32_e32 v9, 0x3f317217, v1
	v_fma_f32 v10, v1, s26, -v9
	v_fmac_f32_e32 v10, 0x3377d1cf, v1
	v_add_f32_e32 v9, v9, v10
	v_cmp_lt_f32_e64 vcc, |v1|, s27
	v_fmamk_f32 v2, v2, 0x30c90fdb, v33
	v_mul_f32_e32 v2, 0.15915494, v2
	v_cndmask_b32_e32 v1, v1, v9, vcc
	v_sub_f32_e32 v1, v1, v3
	v_mul_f32_e32 v1, -2.0, v1
	v_mul_f32_e32 v3, 0x4f800000, v1
	v_cmp_gt_f32_e32 vcc, s28, v1
	s_nop 1
	v_cndmask_b32_e32 v1, v1, v3, vcc
	v_sqrt_f32_e32 v3, v1
	s_nop 0
	v_add_u32_e32 v9, -1, v3
	v_add_u32_e32 v10, 1, v3
	v_fma_f32 v11, -v9, v3, v1
	v_fma_f32 v12, -v10, v3, v1
	v_cmp_ge_f32_e64 s[0:1], 0, v11
	s_nop 1
	v_cndmask_b32_e64 v3, v3, v9, s[0:1]
	v_cmp_lt_f32_e64 s[0:1], 0, v12
	s_nop 1
	v_cndmask_b32_e64 v3, v3, v10, s[0:1]
	v_mul_f32_e32 v9, 0x37800000, v3
	v_cndmask_b32_e32 v3, v3, v9, vcc
	v_cmp_class_f32_e32 vcc, v1, v35
	s_nop 1
	v_cndmask_b32_e32 v1, v3, v1, vcc
	v_cmp_gt_i64_e32 vcc, s[4:5], v[16:17]
	s_and_saveexec_b64 s[0:1], vcc
	s_cbranch_execz .LBB14_20
; %bb.19:                               ;   in Loop: Header=BB14_8 Depth=1
	v_sin_f32_e32 v3, v2
	v_mov_b32_e32 v9, s9
	v_mul_f32_e32 v3, v3, v1
	v_fma_f32 v3, s10, v3, v9
	v_mul_f32_e32 v9, 0x3fb8aa3b, v3
	v_fma_f32 v10, v3, s29, -v9
	v_rndne_f32_e32 v11, v9
	v_fmac_f32_e32 v10, 0x32a5705f, v3
	v_sub_f32_e32 v9, v9, v11
	v_add_f32_e32 v9, v9, v10
	v_exp_f32_e32 v9, v9
	v_cvt_i32_f32_e32 v12, v11
	v_cmp_ngt_f32_e32 vcc, s30, v3
	v_add_u32_e32 v10, s34, v23
	v_ashrrev_i32_e32 v11, 31, v10
	v_ldexp_f32 v9, v9, v12
	v_cndmask_b32_e32 v9, 0, v9, vcc
	v_cmp_nlt_f32_e32 vcc, s31, v3
	v_lshl_add_u64 v[10:11], s[16:17], 0, v[10:11]
	s_nop 0
	v_cndmask_b32_e32 v3, v41, v9, vcc
	v_bfe_u32 v9, v3, 16, 1
	v_add3_u32 v9, v3, v9, s33
	v_lshrrev_b32_e32 v9, 16, v9
	v_cmp_o_f32_e32 vcc, v3, v3
	s_nop 1
	v_cndmask_b32_e32 v3, v43, v9, vcc
	global_store_short v[10:11], v3, off
.LBB14_20:                              ;   in Loop: Header=BB14_8 Depth=1
	s_or_b64 exec, exec, s[0:1]
	v_lshl_add_u64 v[10:11], s[6:7], 0, v[16:17]
	v_cmp_gt_i64_e32 vcc, s[4:5], v[10:11]
	s_and_saveexec_b64 s[0:1], vcc
	s_cbranch_execz .LBB14_22
; %bb.21:                               ;   in Loop: Header=BB14_8 Depth=1
	v_cos_f32_e32 v2, v2
	v_mov_b32_e32 v3, s9
	v_mul_f32_e32 v1, v2, v1
	v_fma_f32 v1, s10, v1, v3
	v_mul_f32_e32 v2, 0x3fb8aa3b, v1
	v_fma_f32 v3, v1, s29, -v2
	v_rndne_f32_e32 v9, v2
	v_fmac_f32_e32 v3, 0x32a5705f, v1
	v_sub_f32_e32 v2, v2, v9
	v_add_f32_e32 v2, v2, v3
	v_exp_f32_e32 v10, v2
	v_cvt_i32_f32_e32 v9, v9
	v_cmp_ngt_f32_e32 vcc, s30, v1
	v_add_u32_e32 v2, s34, v29
	v_ashrrev_i32_e32 v3, 31, v2
	v_ldexp_f32 v9, v10, v9
	v_cndmask_b32_e32 v9, 0, v9, vcc
	v_cmp_nlt_f32_e32 vcc, s31, v1
	v_lshl_add_u64 v[2:3], s[16:17], 0, v[2:3]
	s_nop 0
	v_cndmask_b32_e32 v1, v41, v9, vcc
	v_bfe_u32 v9, v1, 16, 1
	v_add3_u32 v9, v1, v9, s33
	v_lshrrev_b32_e32 v9, 16, v9
	v_cmp_o_f32_e32 vcc, v1, v1
	s_nop 1
	v_cndmask_b32_e32 v1, v43, v9, vcc
	global_store_short v[2:3], v1, off
.LBB14_22:                              ;   in Loop: Header=BB14_8 Depth=1
	s_or_b64 exec, exec, s[0:1]
	v_cvt_f32_u32_e32 v1, v4
	v_fmamk_f32 v1, v1, 0x2f800000, v31
	v_cmp_gt_f32_e32 vcc, s8, v1
	s_nop 1
	v_cndmask_b32_e32 v2, 1.0, v37, vcc
	v_mul_f32_e32 v1, v1, v2
	v_log_f32_e32 v1, v1
	v_cvt_f32_u32_e32 v2, v5
	v_cndmask_b32_e32 v3, 0, v39, vcc
	v_mul_f32_e32 v4, 0x3f317217, v1
	v_fma_f32 v5, v1, s26, -v4
	v_fmac_f32_e32 v5, 0x3377d1cf, v1
	v_add_f32_e32 v4, v4, v5
	v_cmp_lt_f32_e64 vcc, |v1|, s27
	s_nop 1
	v_cndmask_b32_e32 v1, v1, v4, vcc
	v_sub_f32_e32 v1, v1, v3
	v_mul_f32_e32 v1, -2.0, v1
	v_mul_f32_e32 v3, 0x4f800000, v1
	v_cmp_gt_f32_e32 vcc, s28, v1
	v_fmamk_f32 v4, v2, 0x30c90fdb, v33
	s_nop 0
	v_cndmask_b32_e32 v1, v1, v3, vcc
	v_sqrt_f32_e32 v3, v1
	s_nop 0
	v_add_u32_e32 v2, -1, v3
	v_add_u32_e32 v5, 1, v3
	v_fma_f32 v9, -v2, v3, v1
	v_fma_f32 v10, -v5, v3, v1
	v_cmp_ge_f32_e64 s[0:1], 0, v9
	s_nop 1
	v_cndmask_b32_e64 v2, v3, v2, s[0:1]
	v_cmp_lt_f32_e64 s[0:1], 0, v10
	s_nop 1
	v_cndmask_b32_e64 v2, v2, v5, s[0:1]
	v_mul_f32_e32 v3, 0x37800000, v2
	v_cndmask_b32_e32 v2, v2, v3, vcc
	v_cmp_class_f32_e32 vcc, v1, v35
	s_nop 1
	v_cndmask_b32_e32 v1, v2, v1, vcc
	v_lshl_add_u64 v[2:3], s[18:19], 0, v[16:17]
	v_cmp_gt_i64_e32 vcc, s[4:5], v[2:3]
	v_mul_f32_e32 v2, 0.15915494, v4
	s_and_saveexec_b64 s[0:1], vcc
	s_cbranch_execz .LBB14_24
; %bb.23:                               ;   in Loop: Header=BB14_8 Depth=1
	v_sin_f32_e32 v3, v2
	v_mov_b32_e32 v4, s9
	v_mul_f32_e32 v3, v3, v1
	v_fma_f32 v3, s10, v3, v4
	v_mul_f32_e32 v4, 0x3fb8aa3b, v3
	v_fma_f32 v5, v3, s29, -v4
	v_rndne_f32_e32 v9, v4
	v_fmac_f32_e32 v5, 0x32a5705f, v3
	v_sub_f32_e32 v4, v4, v9
	v_add_f32_e32 v4, v4, v5
	v_exp_f32_e32 v10, v4
	v_cvt_i32_f32_e32 v9, v9
	v_cmp_ngt_f32_e32 vcc, s30, v3
	v_add_u32_e32 v4, s34, v27
	v_ashrrev_i32_e32 v5, 31, v4
	v_ldexp_f32 v9, v10, v9
	v_cndmask_b32_e32 v9, 0, v9, vcc
	v_cmp_nlt_f32_e32 vcc, s31, v3
	v_lshl_add_u64 v[4:5], s[16:17], 0, v[4:5]
	s_nop 0
	v_cndmask_b32_e32 v3, v41, v9, vcc
	v_bfe_u32 v9, v3, 16, 1
	v_add3_u32 v9, v3, v9, s33
	v_lshrrev_b32_e32 v9, 16, v9
	v_cmp_o_f32_e32 vcc, v3, v3
	s_nop 1
	v_cndmask_b32_e32 v3, v43, v9, vcc
	global_store_short v[4:5], v3, off
.LBB14_24:                              ;   in Loop: Header=BB14_8 Depth=1
	s_or_b64 exec, exec, s[0:1]
	v_lshl_add_u64 v[4:5], s[20:21], 0, v[16:17]
	v_cmp_gt_i64_e32 vcc, s[4:5], v[4:5]
	s_and_saveexec_b64 s[0:1], vcc
	s_cbranch_execz .LBB14_7
; %bb.25:                               ;   in Loop: Header=BB14_8 Depth=1
	v_cos_f32_e32 v2, v2
	v_mov_b32_e32 v3, s9
	v_mul_f32_e32 v1, v2, v1
	v_fma_f32 v1, s10, v1, v3
	v_mul_f32_e32 v2, 0x3fb8aa3b, v1
	v_fma_f32 v3, v1, s29, -v2
	v_rndne_f32_e32 v4, v2
	v_fmac_f32_e32 v3, 0x32a5705f, v1
	v_sub_f32_e32 v2, v2, v4
	v_add_f32_e32 v2, v2, v3
	v_exp_f32_e32 v5, v2
	v_cvt_i32_f32_e32 v4, v4
	v_cmp_ngt_f32_e32 vcc, s30, v1
	v_add_u32_e32 v2, s34, v25
	v_ashrrev_i32_e32 v3, 31, v2
	v_ldexp_f32 v4, v5, v4
	v_cndmask_b32_e32 v4, 0, v4, vcc
	v_cmp_nlt_f32_e32 vcc, s31, v1
	v_lshl_add_u64 v[2:3], s[16:17], 0, v[2:3]
	s_nop 0
	v_cndmask_b32_e32 v1, v41, v4, vcc
	v_bfe_u32 v4, v1, 16, 1
	v_add3_u32 v4, v1, v4, s33
	v_lshrrev_b32_e32 v4, 16, v4
	v_cmp_o_f32_e32 vcc, v1, v1
	s_nop 1
	v_cndmask_b32_e32 v1, v43, v4, vcc
	global_store_short v[2:3], v1, off
	s_branch .LBB14_7
.LBB14_26:
	s_endpgm
.LBB14_27:
                                        ; implicit-def: $sgpr10_sgpr11
	s_andn2_b64 vcc, exec, s[8:9]
	s_cbranch_vccz .LBB14_4
	s_branch .LBB14_5
	.section	.rodata,"a",@progbits
	.p2align	6, 0x0
	.amdhsa_kernel _ZN2at6native12_GLOBAL__N_143distribution_elementwise_grid_stride_kernelIfLi4EZNS0_9templates4cuda20normal_and_transformIN3c108BFloat16EfPNS_17CUDAGeneratorImplEZZZNS4_17log_normal_kernelIS9_EEvRNS_18TensorIteratorBaseEddT_ENKUlvE_clEvENKUlvE2_clEvEUlfE_EEvSC_T1_T2_EUlP25hiprandStatePhilox4_32_10E0_ZNS1_27distribution_nullary_kernelIS7_f15HIP_vector_typeIfLj4EES9_SL_SG_EEvSC_SI_RKT3_T4_EUlifE_EEvlNS_15PhiloxCudaStateESH_SI_
		.amdhsa_group_segment_fixed_size 0
		.amdhsa_private_segment_fixed_size 0
		.amdhsa_kernarg_size 328
		.amdhsa_user_sgpr_count 2
		.amdhsa_user_sgpr_dispatch_ptr 0
		.amdhsa_user_sgpr_queue_ptr 0
		.amdhsa_user_sgpr_kernarg_segment_ptr 1
		.amdhsa_user_sgpr_dispatch_id 0
		.amdhsa_user_sgpr_kernarg_preload_length 0
		.amdhsa_user_sgpr_kernarg_preload_offset 0
		.amdhsa_user_sgpr_private_segment_size 0
		.amdhsa_uses_dynamic_stack 0
		.amdhsa_enable_private_segment 0
		.amdhsa_system_sgpr_workgroup_id_x 1
		.amdhsa_system_sgpr_workgroup_id_y 0
		.amdhsa_system_sgpr_workgroup_id_z 0
		.amdhsa_system_sgpr_workgroup_info 0
		.amdhsa_system_vgpr_workitem_id 0
		.amdhsa_next_free_vgpr 56
		.amdhsa_next_free_sgpr 35
		.amdhsa_accum_offset 56
		.amdhsa_reserve_vcc 1
		.amdhsa_float_round_mode_32 0
		.amdhsa_float_round_mode_16_64 0
		.amdhsa_float_denorm_mode_32 3
		.amdhsa_float_denorm_mode_16_64 3
		.amdhsa_dx10_clamp 1
		.amdhsa_ieee_mode 1
		.amdhsa_fp16_overflow 0
		.amdhsa_tg_split 0
		.amdhsa_exception_fp_ieee_invalid_op 0
		.amdhsa_exception_fp_denorm_src 0
		.amdhsa_exception_fp_ieee_div_zero 0
		.amdhsa_exception_fp_ieee_overflow 0
		.amdhsa_exception_fp_ieee_underflow 0
		.amdhsa_exception_fp_ieee_inexact 0
		.amdhsa_exception_int_div_zero 0
	.end_amdhsa_kernel
	.section	.text._ZN2at6native12_GLOBAL__N_143distribution_elementwise_grid_stride_kernelIfLi4EZNS0_9templates4cuda20normal_and_transformIN3c108BFloat16EfPNS_17CUDAGeneratorImplEZZZNS4_17log_normal_kernelIS9_EEvRNS_18TensorIteratorBaseEddT_ENKUlvE_clEvENKUlvE2_clEvEUlfE_EEvSC_T1_T2_EUlP25hiprandStatePhilox4_32_10E0_ZNS1_27distribution_nullary_kernelIS7_f15HIP_vector_typeIfLj4EES9_SL_SG_EEvSC_SI_RKT3_T4_EUlifE_EEvlNS_15PhiloxCudaStateESH_SI_,"axG",@progbits,_ZN2at6native12_GLOBAL__N_143distribution_elementwise_grid_stride_kernelIfLi4EZNS0_9templates4cuda20normal_and_transformIN3c108BFloat16EfPNS_17CUDAGeneratorImplEZZZNS4_17log_normal_kernelIS9_EEvRNS_18TensorIteratorBaseEddT_ENKUlvE_clEvENKUlvE2_clEvEUlfE_EEvSC_T1_T2_EUlP25hiprandStatePhilox4_32_10E0_ZNS1_27distribution_nullary_kernelIS7_f15HIP_vector_typeIfLj4EES9_SL_SG_EEvSC_SI_RKT3_T4_EUlifE_EEvlNS_15PhiloxCudaStateESH_SI_,comdat
.Lfunc_end14:
	.size	_ZN2at6native12_GLOBAL__N_143distribution_elementwise_grid_stride_kernelIfLi4EZNS0_9templates4cuda20normal_and_transformIN3c108BFloat16EfPNS_17CUDAGeneratorImplEZZZNS4_17log_normal_kernelIS9_EEvRNS_18TensorIteratorBaseEddT_ENKUlvE_clEvENKUlvE2_clEvEUlfE_EEvSC_T1_T2_EUlP25hiprandStatePhilox4_32_10E0_ZNS1_27distribution_nullary_kernelIS7_f15HIP_vector_typeIfLj4EES9_SL_SG_EEvSC_SI_RKT3_T4_EUlifE_EEvlNS_15PhiloxCudaStateESH_SI_, .Lfunc_end14-_ZN2at6native12_GLOBAL__N_143distribution_elementwise_grid_stride_kernelIfLi4EZNS0_9templates4cuda20normal_and_transformIN3c108BFloat16EfPNS_17CUDAGeneratorImplEZZZNS4_17log_normal_kernelIS9_EEvRNS_18TensorIteratorBaseEddT_ENKUlvE_clEvENKUlvE2_clEvEUlfE_EEvSC_T1_T2_EUlP25hiprandStatePhilox4_32_10E0_ZNS1_27distribution_nullary_kernelIS7_f15HIP_vector_typeIfLj4EES9_SL_SG_EEvSC_SI_RKT3_T4_EUlifE_EEvlNS_15PhiloxCudaStateESH_SI_
                                        ; -- End function
	.section	.AMDGPU.csdata,"",@progbits
; Kernel info:
; codeLenInByte = 3408
; NumSgprs: 41
; NumVgprs: 56
; NumAgprs: 0
; TotalNumVgprs: 56
; ScratchSize: 0
; MemoryBound: 0
; FloatMode: 240
; IeeeMode: 1
; LDSByteSize: 0 bytes/workgroup (compile time only)
; SGPRBlocks: 5
; VGPRBlocks: 6
; NumSGPRsForWavesPerEU: 41
; NumVGPRsForWavesPerEU: 56
; AccumOffset: 56
; Occupancy: 8
; WaveLimiterHint : 0
; COMPUTE_PGM_RSRC2:SCRATCH_EN: 0
; COMPUTE_PGM_RSRC2:USER_SGPR: 2
; COMPUTE_PGM_RSRC2:TRAP_HANDLER: 0
; COMPUTE_PGM_RSRC2:TGID_X_EN: 1
; COMPUTE_PGM_RSRC2:TGID_Y_EN: 0
; COMPUTE_PGM_RSRC2:TGID_Z_EN: 0
; COMPUTE_PGM_RSRC2:TIDIG_COMP_CNT: 0
; COMPUTE_PGM_RSRC3_GFX90A:ACCUM_OFFSET: 13
; COMPUTE_PGM_RSRC3_GFX90A:TG_SPLIT: 0
	.section	.text._ZN2at6native12_GLOBAL__N_143distribution_elementwise_grid_stride_kernelIfLi4EZNS0_9templates4cuda20normal_and_transformIN3c108BFloat16EfPNS_17CUDAGeneratorImplEZZZNS4_17log_normal_kernelIS9_EEvRNS_18TensorIteratorBaseEddT_ENKUlvE_clEvENKUlvE2_clEvEUlfE_EEvSC_T1_T2_EUlP25hiprandStatePhilox4_32_10E0_ZNS1_27distribution_nullary_kernelIS7_f15HIP_vector_typeIfLj4EES9_SL_SG_EEvSC_SI_RKT3_T4_EUlifE0_EEvlNS_15PhiloxCudaStateESH_SI_,"axG",@progbits,_ZN2at6native12_GLOBAL__N_143distribution_elementwise_grid_stride_kernelIfLi4EZNS0_9templates4cuda20normal_and_transformIN3c108BFloat16EfPNS_17CUDAGeneratorImplEZZZNS4_17log_normal_kernelIS9_EEvRNS_18TensorIteratorBaseEddT_ENKUlvE_clEvENKUlvE2_clEvEUlfE_EEvSC_T1_T2_EUlP25hiprandStatePhilox4_32_10E0_ZNS1_27distribution_nullary_kernelIS7_f15HIP_vector_typeIfLj4EES9_SL_SG_EEvSC_SI_RKT3_T4_EUlifE0_EEvlNS_15PhiloxCudaStateESH_SI_,comdat
	.globl	_ZN2at6native12_GLOBAL__N_143distribution_elementwise_grid_stride_kernelIfLi4EZNS0_9templates4cuda20normal_and_transformIN3c108BFloat16EfPNS_17CUDAGeneratorImplEZZZNS4_17log_normal_kernelIS9_EEvRNS_18TensorIteratorBaseEddT_ENKUlvE_clEvENKUlvE2_clEvEUlfE_EEvSC_T1_T2_EUlP25hiprandStatePhilox4_32_10E0_ZNS1_27distribution_nullary_kernelIS7_f15HIP_vector_typeIfLj4EES9_SL_SG_EEvSC_SI_RKT3_T4_EUlifE0_EEvlNS_15PhiloxCudaStateESH_SI_ ; -- Begin function _ZN2at6native12_GLOBAL__N_143distribution_elementwise_grid_stride_kernelIfLi4EZNS0_9templates4cuda20normal_and_transformIN3c108BFloat16EfPNS_17CUDAGeneratorImplEZZZNS4_17log_normal_kernelIS9_EEvRNS_18TensorIteratorBaseEddT_ENKUlvE_clEvENKUlvE2_clEvEUlfE_EEvSC_T1_T2_EUlP25hiprandStatePhilox4_32_10E0_ZNS1_27distribution_nullary_kernelIS7_f15HIP_vector_typeIfLj4EES9_SL_SG_EEvSC_SI_RKT3_T4_EUlifE0_EEvlNS_15PhiloxCudaStateESH_SI_
	.p2align	8
	.type	_ZN2at6native12_GLOBAL__N_143distribution_elementwise_grid_stride_kernelIfLi4EZNS0_9templates4cuda20normal_and_transformIN3c108BFloat16EfPNS_17CUDAGeneratorImplEZZZNS4_17log_normal_kernelIS9_EEvRNS_18TensorIteratorBaseEddT_ENKUlvE_clEvENKUlvE2_clEvEUlfE_EEvSC_T1_T2_EUlP25hiprandStatePhilox4_32_10E0_ZNS1_27distribution_nullary_kernelIS7_f15HIP_vector_typeIfLj4EES9_SL_SG_EEvSC_SI_RKT3_T4_EUlifE0_EEvlNS_15PhiloxCudaStateESH_SI_,@function
_ZN2at6native12_GLOBAL__N_143distribution_elementwise_grid_stride_kernelIfLi4EZNS0_9templates4cuda20normal_and_transformIN3c108BFloat16EfPNS_17CUDAGeneratorImplEZZZNS4_17log_normal_kernelIS9_EEvRNS_18TensorIteratorBaseEddT_ENKUlvE_clEvENKUlvE2_clEvEUlfE_EEvSC_T1_T2_EUlP25hiprandStatePhilox4_32_10E0_ZNS1_27distribution_nullary_kernelIS7_f15HIP_vector_typeIfLj4EES9_SL_SG_EEvSC_SI_RKT3_T4_EUlifE0_EEvlNS_15PhiloxCudaStateESH_SI_: ; @_ZN2at6native12_GLOBAL__N_143distribution_elementwise_grid_stride_kernelIfLi4EZNS0_9templates4cuda20normal_and_transformIN3c108BFloat16EfPNS_17CUDAGeneratorImplEZZZNS4_17log_normal_kernelIS9_EEvRNS_18TensorIteratorBaseEddT_ENKUlvE_clEvENKUlvE2_clEvEUlfE_EEvSC_T1_T2_EUlP25hiprandStatePhilox4_32_10E0_ZNS1_27distribution_nullary_kernelIS7_f15HIP_vector_typeIfLj4EES9_SL_SG_EEvSC_SI_RKT3_T4_EUlifE0_EEvlNS_15PhiloxCudaStateESH_SI_
; %bb.0:
	s_load_dword s3, s[0:1], 0x20
	s_load_dwordx2 s[4:5], s[0:1], 0x10
	s_load_dwordx4 s[20:23], s[0:1], 0x0
	s_mov_b32 s35, 0
	s_waitcnt lgkmcnt(0)
	s_bitcmp0_b32 s3, 0
	v_mov_b64_e32 v[2:3], s[4:5]
	v_mov_b64_e32 v[10:11], s[22:23]
	s_cbranch_scc1 .LBB15_2
; %bb.1:
	v_mov_b64_e32 v[4:5], s[4:5]
	v_mov_b64_e32 v[2:3], s[22:23]
	flat_load_dwordx2 v[6:7], v[4:5]
	flat_load_dwordx2 v[10:11], v[2:3]
	s_load_dwordx2 s[4:5], s[0:1], 0x18
	s_waitcnt vmcnt(0) lgkmcnt(0)
	v_lshl_add_u64 v[2:3], v[6:7], 0, s[4:5]
.LBB15_2:
	s_load_dword s4, s[0:1], 0x154
	s_load_dword s3, s[0:1], 0x148
	s_mov_b32 s6, s35
	s_waitcnt lgkmcnt(0)
	s_and_b32 s8, s4, 0xffff
	s_add_u32 s9, s20, -1
	s_mul_i32 s22, s3, s8
	s_addc_u32 s7, s21, -1
	s_lshl_b32 s34, s22, 2
	s_cmp_lg_u64 s[6:7], 0
	s_mov_b64 s[4:5], -1
	s_cbranch_scc0 .LBB15_83
; %bb.3:
	v_cvt_f32_u32_e32 v1, s34
	v_cvt_f32_ubyte0_e32 v4, 0
	s_sub_u32 s6, 0, s34
	s_subb_u32 s10, 0, 0
	v_fmamk_f32 v1, v4, 0x4f800000, v1
	v_rcp_f32_e32 v1, v1
	s_nop 0
	v_mul_f32_e32 v1, 0x5f7ffffc, v1
	v_mul_f32_e32 v4, 0x2f800000, v1
	v_trunc_f32_e32 v4, v4
	v_fmamk_f32 v1, v4, 0xcf800000, v1
	v_cvt_u32_f32_e32 v4, v4
	v_cvt_u32_f32_e32 v1, v1
	v_readfirstlane_b32 s11, v4
	v_readfirstlane_b32 s12, v1
	s_mul_i32 s13, s6, s11
	s_mul_hi_u32 s15, s6, s12
	s_mul_i32 s14, s10, s12
	s_add_i32 s13, s15, s13
	s_add_i32 s13, s13, s14
	s_mul_i32 s16, s6, s12
	s_mul_hi_u32 s14, s12, s13
	s_mul_i32 s15, s12, s13
	s_mul_hi_u32 s12, s12, s16
	s_add_u32 s12, s12, s15
	s_addc_u32 s14, 0, s14
	s_mul_hi_u32 s17, s11, s16
	s_mul_i32 s16, s11, s16
	s_add_u32 s12, s12, s16
	s_mul_hi_u32 s15, s11, s13
	s_addc_u32 s12, s14, s17
	s_addc_u32 s14, s15, 0
	s_mul_i32 s13, s11, s13
	s_add_u32 s12, s12, s13
	s_addc_u32 s13, 0, s14
	v_add_co_u32_e32 v1, vcc, s12, v1
	s_cmp_lg_u64 vcc, 0
	s_addc_u32 s11, s11, s13
	v_readfirstlane_b32 s13, v1
	s_mul_i32 s12, s6, s11
	s_mul_hi_u32 s14, s6, s13
	s_add_i32 s12, s14, s12
	s_mul_i32 s10, s10, s13
	s_add_i32 s12, s12, s10
	s_mul_i32 s6, s6, s13
	s_mul_hi_u32 s14, s11, s6
	s_mul_i32 s15, s11, s6
	s_mul_i32 s17, s13, s12
	s_mul_hi_u32 s6, s13, s6
	s_mul_hi_u32 s16, s13, s12
	s_add_u32 s6, s6, s17
	s_addc_u32 s13, 0, s16
	s_add_u32 s6, s6, s15
	s_mul_hi_u32 s10, s11, s12
	s_addc_u32 s6, s13, s14
	s_addc_u32 s10, s10, 0
	s_mul_i32 s12, s11, s12
	s_add_u32 s6, s6, s12
	s_addc_u32 s10, 0, s10
	v_add_co_u32_e32 v1, vcc, s6, v1
	s_cmp_lg_u64 vcc, 0
	s_addc_u32 s12, s11, s10
	s_ashr_i32 s10, s7, 31
	s_add_u32 s6, s9, s10
	s_mov_b32 s11, s10
	s_addc_u32 s7, s7, s10
	s_xor_b64 s[6:7], s[6:7], s[10:11]
	v_readfirstlane_b32 s15, v1
	s_mul_i32 s14, s6, s12
	s_mul_hi_u32 s16, s6, s15
	s_mul_hi_u32 s13, s6, s12
	s_add_u32 s14, s16, s14
	s_addc_u32 s13, 0, s13
	s_mul_hi_u32 s17, s7, s15
	s_mul_i32 s15, s7, s15
	s_add_u32 s14, s14, s15
	s_mul_hi_u32 s16, s7, s12
	s_addc_u32 s13, s13, s17
	s_addc_u32 s14, s16, 0
	s_mul_i32 s12, s7, s12
	s_add_u32 s12, s13, s12
	s_addc_u32 s13, 0, s14
	s_add_u32 s14, s12, 1
	s_addc_u32 s15, s13, 0
	s_add_u32 s16, s12, 2
	s_mul_i32 s18, s34, s13
	s_mul_hi_u32 s19, s34, s12
	s_addc_u32 s17, s13, 0
	s_add_i32 s19, s19, s18
	s_mul_i32 s18, s34, s12
	v_mov_b32_e32 v1, s18
	v_sub_co_u32_e32 v1, vcc, s6, v1
	s_cmp_lg_u64 vcc, 0
	s_subb_u32 s6, s7, s19
	v_subrev_co_u32_e32 v4, vcc, s34, v1
	s_cmp_lg_u64 vcc, 0
	s_subb_u32 s7, s6, 0
	v_readfirstlane_b32 s18, v4
	s_cmp_ge_u32 s18, s34
	s_cselect_b32 s18, -1, 0
	s_cmp_eq_u32 s7, 0
	s_cselect_b32 s7, s18, -1
	s_cmp_lg_u32 s7, 0
	s_cselect_b32 s7, s17, s15
	v_readfirstlane_b32 s15, v1
	s_cselect_b32 s14, s16, s14
	s_cmp_ge_u32 s15, s34
	s_cselect_b32 s15, -1, 0
	s_cmp_eq_u32 s6, 0
	s_cselect_b32 s6, s15, -1
	s_cmp_lg_u32 s6, 0
	s_cselect_b32 s7, s7, s13
	s_cselect_b32 s6, s14, s12
	s_xor_b64 s[6:7], s[6:7], s[10:11]
	s_sub_u32 s6, s6, s10
	s_subb_u32 s7, s7, s10
	s_cbranch_execnz .LBB15_5
.LBB15_4:
	v_cvt_f32_u32_e32 v1, s34
	s_sub_i32 s4, 0, s34
	s_mov_b32 s7, 0
	v_rcp_iflag_f32_e32 v1, v1
	s_nop 0
	v_mul_f32_e32 v1, 0x4f7ffffe, v1
	v_cvt_u32_f32_e32 v1, v1
	s_nop 0
	v_readfirstlane_b32 s5, v1
	s_mul_i32 s4, s4, s5
	s_mul_hi_u32 s4, s5, s4
	s_add_i32 s5, s5, s4
	s_mul_hi_u32 s4, s9, s5
	s_mul_i32 s6, s4, s34
	s_sub_i32 s6, s9, s6
	s_add_i32 s5, s4, 1
	s_sub_i32 s9, s6, s34
	s_cmp_ge_u32 s6, s34
	s_cselect_b32 s4, s5, s4
	s_cselect_b32 s6, s9, s6
	s_add_i32 s5, s4, 1
	s_cmp_ge_u32 s6, s34
	s_cselect_b32 s6, s5, s4
.LBB15_5:
	v_mov_b32_e32 v1, 0
	v_mov_b32_e32 v4, s2
	v_mad_u64_u32 v[12:13], s[4:5], s8, v4, v[0:1]
	s_add_u32 s2, s6, 1
	s_addc_u32 s4, s7, 0
	s_mul_hi_u32 s3, s3, s8
	s_mul_i32 s4, s22, s4
	s_mul_hi_u32 s5, s22, s2
	s_add_i32 s4, s5, s4
	s_mul_i32 s3, s3, s2
	s_add_i32 s3, s4, s3
	s_mul_i32 s2, s22, s2
	s_lshl_b64 s[40:41], s[2:3], 2
	v_cmp_gt_i64_e32 vcc, s[40:41], v[12:13]
	s_and_saveexec_b64 s[2:3], vcc
	s_cbranch_execz .LBB15_82
; %bb.6:
	v_mov_b32_e32 v0, v11
	s_mov_b64 s[2:3], 0xdb3d7428
	v_lshl_add_u64 v[14:15], v[0:1], 0, s[2:3]
	s_mov_b64 s[2:3], 0x5384540f
	v_lshl_add_u64 v[16:17], v[10:11], 0, s[2:3]
	s_mov_b64 s[2:3], 0x646e171e
	v_lshl_add_u64 v[18:19], v[0:1], 0, s[2:3]
	s_mov_b64 s[2:3], 0x1715609d
	v_lshl_add_u64 v[20:21], v[10:11], 0, s[2:3]
	s_mov_b64 s[2:3], 0xed9eba14
	v_lshl_add_u64 v[22:23], v[0:1], 0, s[2:3]
	s_mov_b64 s[2:3], 0xdaa66d2b
	v_lshl_add_u64 v[24:25], v[10:11], 0, s[2:3]
	s_mov_b64 s[2:3], 0x76cf5d0a
	v_lshl_add_u64 v[26:27], v[0:1], 0, s[2:3]
	s_mov_b64 s[2:3], 0x9e3779b9
	v_alignbit_b32 v15, v3, v2, 2
	s_mov_b32 s33, 0xd2511f53
	v_lshl_add_u64 v[28:29], v[10:11], 0, s[2:3]
	v_mad_u64_u32 v[4:5], s[2:3], v15, s33, 0
	v_and_b32_e32 v48, 3, v2
	v_xor_b32_e32 v2, v5, v11
	v_xor_b32_e32 v2, v2, v13
	s_mov_b32 s68, 0xcd9e8d57
	v_mad_u64_u32 v[6:7], s[2:3], v2, s68, 0
	v_xor_b32_e32 v2, v28, v7
	v_mad_u64_u32 v[8:9], s[2:3], v12, s68, 0
	v_xor_b32_e32 v2, v2, v8
	;; [unrolled: 2-line block ×3, first 2 shown]
	v_lshrrev_b32_e32 v17, 2, v3
	v_xor_b32_e32 v2, v2, v17
	v_xor_b32_e32 v5, v26, v37
	v_mad_u64_u32 v[2:3], s[2:3], v2, s33, 0
	v_xor_b32_e32 v2, v5, v2
	v_mad_u64_u32 v[8:9], s[2:3], v2, s68, 0
	s_mov_b64 s[2:3], 0xbb67ae85
	s_nop 0
	v_lshl_add_u64 v[30:31], v[0:1], 0, s[2:3]
	v_xor_b32_e32 v2, v30, v3
	v_xor_b32_e32 v2, v2, v4
	v_xor_b32_e32 v5, v24, v9
	v_mad_u64_u32 v[2:3], s[2:3], v2, s68, 0
	v_xor_b32_e32 v2, v5, v2
	v_mad_u64_u32 v[4:5], s[2:3], v2, s33, 0
	s_mov_b64 s[2:3], 0x3c6ef372
	s_nop 0
	v_lshl_add_u64 v[32:33], v[10:11], 0, s[2:3]
	v_xor_b32_e32 v2, v32, v3
	;; [unrolled: 9-line block ×7, first 2 shown]
	v_xor_b32_e32 v0, v0, v44
	v_mad_u64_u32 v[0:1], s[2:3], v0, s68, 0
	s_mov_b64 s[2:3], 0xf1bbcdc8
	s_load_dwordx8 s[4:11], s[0:1], 0x30
	v_add_u32_e32 v49, 0x8ff34781, v10
	v_xor_b32_e32 v0, v53, v0
	v_lshl_add_u64 v[44:45], v[10:11], 0, s[2:3]
	v_xor_b32_e32 v4, v49, v0
	v_xor_b32_e32 v0, v44, v1
	;; [unrolled: 1-line block ×3, first 2 shown]
	s_add_u32 s42, s0, 48
	v_mad_u64_u32 v[0:1], s[2:3], v0, s33, 0
	s_addc_u32 s43, s1, 0
	s_waitcnt lgkmcnt(0)
	s_add_i32 s2, s4, -1
	s_cmp_gt_u32 s2, 1
	s_cselect_b64 s[44:45], -1, 0
	s_cmp_lg_u32 s4, 0
	s_cselect_b64 s[46:47], -1, 0
	s_add_u32 s48, s0, 0xf4
	s_addc_u32 s49, s1, 0
	s_min_u32 s3, s2, 15
	s_cmp_gt_u32 s4, 1
	s_cselect_b64 s[50:51], -1, 0
	s_add_i32 s3, s3, 1
	s_mov_b32 s4, s9
	s_load_dwordx2 s[52:53], s[0:1], 0xf4
	s_load_dwordx4 s[24:27], s[0:1], 0x138
	s_lshl_b32 s54, s22, 1
	s_and_b32 s9, s3, 3
	s_cmp_lg_u32 s2, 2
	s_cselect_b64 s[58:59], -1, 0
	s_and_b32 s11, s3, 28
	s_mov_b32 s23, 0
	v_add_u32_e32 v50, 0x96a522ad, v11
	v_xor_b32_e32 v1, v1, v46
	s_cmp_lg_u32 s9, 0
	v_xor_b32_e32 v6, v50, v1
	v_mov_b32_e32 v5, v52
	v_mov_b32_e32 v7, v0
	s_mov_b32 s55, s23
	s_mul_i32 s56, s22, 3
	s_mov_b32 s57, s23
	s_mov_b64 s[60:61], 0
	s_cselect_b64 s[62:63], -1, 0
	v_mov_b32_e32 v19, 0x2f800000
	v_mov_b32_e32 v21, 0x30c90fdb
	s_mov_b32 s69, 0x800000
	s_mov_b32 s70, 0x3f317217
	;; [unrolled: 1-line block ×4, first 2 shown]
	v_mov_b32_e32 v23, 0x260
	s_mov_b32 s73, 0x3fb8aa3b
	s_mov_b32 s74, 0xc2ce8ed0
	;; [unrolled: 1-line block ×3, first 2 shown]
	s_movk_i32 s76, 0x7fff
	v_mov_b32_e32 v25, 0x4f800000
	v_mov_b32_e32 v27, 0x41b17218
	;; [unrolled: 1-line block ×6, first 2 shown]
	s_branch .LBB15_9
.LBB15_7:                               ;   in Loop: Header=BB15_9 Depth=1
	v_mul_f32_e32 v3, 0.15915494, v3
	v_cos_f32_e32 v3, v3
	s_waitcnt lgkmcnt(0)
	v_mov_b32_e32 v5, s26
	v_mul_f32_e32 v3, v3, v8
	v_fma_f32 v3, s27, v3, v5
	v_mul_f32_e32 v5, 0x3fb8aa3b, v3
	v_fma_f32 v6, v3, s73, -v5
	v_rndne_f32_e32 v7, v5
	v_fmac_f32_e32 v6, 0x32a5705f, v3
	v_sub_f32_e32 v5, v5, v7
	v_add_f32_e32 v5, v5, v6
	v_cvt_i32_f32_e32 v6, v7
	v_exp_f32_e32 v5, v5
	v_cmp_ngt_f32_e32 vcc, s74, v3
	v_ldexp_f32 v5, v5, v6
	s_nop 0
	v_cndmask_b32_e32 v5, 0, v5, vcc
	v_cmp_nlt_f32_e32 vcc, s75, v3
	s_nop 1
	v_cndmask_b32_e32 v3, v29, v5, vcc
	v_bfe_u32 v5, v3, 16, 1
	v_add3_u32 v5, v3, v5, s76
	v_lshrrev_b32_e32 v5, 16, v5
	v_cmp_o_f32_e32 vcc, v3, v3
	s_nop 1
	v_cndmask_b32_e32 v3, v31, v5, vcc
	global_store_short v4, v3, s[24:25]
.LBB15_8:                               ;   in Loop: Header=BB15_9 Depth=1
	s_or_b64 exec, exec, s[36:37]
	v_mov_b32_e32 v3, v46
	v_lshl_add_u64 v[12:13], v[12:13], 0, s[34:35]
	v_cmp_le_i64_e32 vcc, s[40:41], v[12:13]
	v_mov_b64_e32 v[6:7], v[2:3]
	s_or_b64 s[60:61], vcc, s[60:61]
	v_mov_b64_e32 v[4:5], v[0:1]
	s_waitcnt lgkmcnt(0)
	s_barrier
	s_andn2_b64 exec, exec, s[60:61]
	s_cbranch_execz .LBB15_82
.LBB15_9:                               ; =>This Loop Header: Depth=1
                                        ;     Child Loop BB15_24 Depth 2
                                        ;     Child Loop BB15_30 Depth 2
	;; [unrolled: 1-line block ×8, first 2 shown]
	v_add_co_u32_e32 v15, vcc, 1, v15
	s_nop 1
	v_cndmask_b32_e64 v0, 0, 1, vcc
	v_addc_co_u32_e32 v17, vcc, 0, v17, vcc
	v_cmp_eq_u32_e32 vcc, 0, v17
	s_nop 1
	v_cndmask_b32_e32 v0, 0, v0, vcc
	v_add_u32_e32 v33, v0, v33
	v_cmp_eq_u32_e32 vcc, 0, v33
	v_mad_u64_u32 v[2:3], s[0:1], v33, s68, 0
	s_nop 0
	v_cndmask_b32_e32 v0, 0, v0, vcc
	v_add_u32_e32 v35, v0, v35
	v_mad_u64_u32 v[0:1], s[0:1], v15, s33, 0
	v_xor_b32_e32 v1, v1, v11
	v_xor_b32_e32 v3, v3, v10
	v_xor_b32_e32 v1, v35, v1
	v_xor_b32_e32 v3, v17, v3
	v_mad_u64_u32 v[46:47], s[0:1], v1, s68, 0
	v_mad_u64_u32 v[8:9], s[0:1], v3, s33, 0
	v_xor_b32_e32 v1, v28, v47
	v_xor_b32_e32 v1, v1, v2
	v_xor_b32_e32 v2, v30, v9
	v_xor_b32_e32 v2, v2, v0
	v_mad_u64_u32 v[0:1], s[0:1], v1, s33, 0
	;; [unrolled: 6-line block ×9, first 2 shown]
	v_mad_u64_u32 v[8:9], s[0:1], v3, s68, 0
	v_xor_b32_e32 v1, v47, v2
	v_xor_b32_e32 v0, v9, v0
	;; [unrolled: 1-line block ×4, first 2 shown]
	v_mov_b32_e32 v1, v8
	v_mov_b32_e32 v2, v9
	v_cmp_lt_i32_e32 vcc, 1, v48
	s_and_saveexec_b64 s[0:1], vcc
	s_xor_b64 s[0:1], exec, s[0:1]
	s_cbranch_execz .LBB15_15
; %bb.10:                               ;   in Loop: Header=BB15_9 Depth=1
	v_cmp_lt_i32_e32 vcc, 2, v48
	s_and_saveexec_b64 s[2:3], vcc
	s_xor_b64 s[2:3], exec, s[2:3]
; %bb.11:                               ;   in Loop: Header=BB15_9 Depth=1
	v_mov_b32_e32 v6, v7
	v_mov_b32_e32 v7, v0
	v_mov_b64_e32 v[4:5], v[6:7]
	v_mov_b64_e32 v[6:7], v[8:9]
                                        ; implicit-def: $vgpr8_vgpr9
; %bb.12:                               ;   in Loop: Header=BB15_9 Depth=1
	s_andn2_saveexec_b64 s[2:3], s[2:3]
; %bb.13:                               ;   in Loop: Header=BB15_9 Depth=1
	v_mov_b32_e32 v4, v6
	v_mov_b32_e32 v5, v7
	;; [unrolled: 1-line block ×4, first 2 shown]
; %bb.14:                               ;   in Loop: Header=BB15_9 Depth=1
	s_or_b64 exec, exec, s[2:3]
.LBB15_15:                              ;   in Loop: Header=BB15_9 Depth=1
	s_andn2_saveexec_b64 s[0:1], s[0:1]
	s_cbranch_execz .LBB15_19
; %bb.16:                               ;   in Loop: Header=BB15_9 Depth=1
	v_cmp_eq_u32_e32 vcc, 1, v48
	s_and_saveexec_b64 s[2:3], vcc
; %bb.17:                               ;   in Loop: Header=BB15_9 Depth=1
	v_mov_b32_e32 v4, v5
	v_mov_b32_e32 v5, v6
	;; [unrolled: 1-line block ×4, first 2 shown]
; %bb.18:                               ;   in Loop: Header=BB15_9 Depth=1
	s_or_b64 exec, exec, s[2:3]
.LBB15_19:                              ;   in Loop: Header=BB15_9 Depth=1
	s_or_b64 exec, exec, s[0:1]
	v_cvt_f32_u32_e32 v3, v4
	v_fmamk_f32 v3, v3, 0x2f800000, v19
	v_cmp_gt_f32_e32 vcc, s69, v3
	s_nop 1
	v_cndmask_b32_e32 v4, 1.0, v25, vcc
	v_mul_f32_e32 v3, v3, v4
	v_log_f32_e32 v3, v3
	v_cvt_f32_u32_e32 v4, v5
	v_cndmask_b32_e32 v5, 0, v27, vcc
	v_mul_f32_e32 v8, 0x3f317217, v3
	v_fma_f32 v9, v3, s70, -v8
	v_fmac_f32_e32 v9, 0x3377d1cf, v3
	v_add_f32_e32 v8, v8, v9
	v_cmp_lt_f32_e64 vcc, |v3|, s71
	s_nop 1
	v_cndmask_b32_e32 v3, v3, v8, vcc
	v_sub_f32_e32 v3, v3, v5
	v_mul_f32_e32 v3, -2.0, v3
	v_mul_f32_e32 v5, 0x4f800000, v3
	v_cmp_gt_f32_e32 vcc, s72, v3
	s_nop 1
	v_cndmask_b32_e32 v5, v3, v5, vcc
	v_sqrt_f32_e32 v8, v5
	v_fmamk_f32 v3, v4, 0x30c90fdb, v21
	v_add_u32_e32 v4, -1, v8
	v_add_u32_e32 v9, 1, v8
	v_fma_f32 v37, -v4, v8, v5
	v_fma_f32 v39, -v9, v8, v5
	v_cmp_ge_f32_e64 s[0:1], 0, v37
	s_nop 1
	v_cndmask_b32_e64 v4, v8, v4, s[0:1]
	v_cmp_lt_f32_e64 s[0:1], 0, v39
	s_nop 1
	v_cndmask_b32_e64 v4, v4, v9, s[0:1]
	v_mul_f32_e32 v8, 0x37800000, v4
	v_cndmask_b32_e32 v4, v4, v8, vcc
	v_cmp_class_f32_e32 vcc, v5, v23
	s_nop 1
	v_cndmask_b32_e32 v37, v4, v5, vcc
	v_cndmask_b32_e64 v4, 0, 1, s[44:45]
	v_cmp_gt_i64_e32 vcc, s[20:21], v[12:13]
	v_cmp_ne_u32_e64 s[0:1], 1, v4
	s_and_saveexec_b64 s[2:3], vcc
	s_cbranch_execz .LBB15_35
; %bb.20:                               ;   in Loop: Header=BB15_9 Depth=1
	s_and_b64 vcc, exec, s[0:1]
	s_cbranch_vccnz .LBB15_26
; %bb.21:                               ;   in Loop: Header=BB15_9 Depth=1
	s_andn2_b64 vcc, exec, s[46:47]
	s_cbranch_vccnz .LBB15_27
; %bb.22:                               ;   in Loop: Header=BB15_9 Depth=1
	s_mov_b32 s14, 0
	s_andn2_b64 vcc, exec, s[58:59]
	v_mov_b32_e32 v4, 0
	s_cbranch_vccnz .LBB15_28
; %bb.23:                               ;   in Loop: Header=BB15_9 Depth=1
	s_mov_b32 s77, 0
	v_mov_b32_e32 v4, 0
	s_mov_b64 s[64:65], s[42:43]
	s_mov_b64 s[66:67], s[48:49]
	v_mov_b32_e32 v8, v12
.LBB15_24:                              ;   Parent Loop BB15_9 Depth=1
                                        ; =>  This Inner Loop Header: Depth=2
	s_load_dwordx8 s[12:19], s[64:65], 0x4
	s_load_dwordx4 s[28:31], s[64:65], 0x24
	s_load_dwordx4 s[36:39], s[66:67], 0x0
	s_add_u32 s64, s64, 48
	s_addc_u32 s65, s65, 0
	s_waitcnt lgkmcnt(0)
	v_mul_hi_u32 v5, s13, v8
	v_add_u32_e32 v5, v8, v5
	v_lshrrev_b32_e32 v5, s14, v5
	v_mul_lo_u32 v9, v5, s12
	v_mul_hi_u32 v39, s16, v5
	v_sub_u32_e32 v8, v8, v9
	v_add_u32_e32 v9, v5, v39
	v_lshrrev_b32_e32 v9, s17, v9
	v_mul_lo_u32 v39, v9, s15
	v_mul_hi_u32 v41, s19, v9
	v_sub_u32_e32 v5, v5, v39
	v_add_u32_e32 v39, v9, v41
	v_mul_lo_u32 v8, v8, s36
	v_mul_lo_u32 v5, v5, s37
	v_lshrrev_b32_e32 v39, s28, v39
	v_add3_u32 v4, v8, v4, v5
	v_mul_hi_u32 v8, s30, v39
	v_add_u32_e32 v8, v39, v8
	v_mul_lo_u32 v5, v39, s18
	v_lshrrev_b32_e32 v8, s31, v8
	s_add_i32 s77, s77, 4
	v_sub_u32_e32 v5, v9, v5
	v_mul_lo_u32 v9, v8, s29
	s_add_u32 s66, s66, 16
	v_sub_u32_e32 v9, v39, v9
	s_addc_u32 s67, s67, 0
	v_mul_lo_u32 v5, v5, s38
	v_mul_lo_u32 v9, v9, s39
	s_cmp_lg_u32 s11, s77
	v_add3_u32 v4, v5, v4, v9
	s_cbranch_scc1 .LBB15_24
; %bb.25:                               ;   in Loop: Header=BB15_9 Depth=1
	s_mov_b32 s14, s11
	s_andn2_b64 vcc, exec, s[62:63]
	s_cbranch_vccz .LBB15_29
	s_branch .LBB15_31
.LBB15_26:                              ;   in Loop: Header=BB15_9 Depth=1
                                        ; implicit-def: $vgpr4
	s_branch .LBB15_32
.LBB15_27:                              ;   in Loop: Header=BB15_9 Depth=1
	v_mov_b32_e32 v4, 0
	s_branch .LBB15_31
.LBB15_28:                              ;   in Loop: Header=BB15_9 Depth=1
	v_mov_b32_e32 v8, v12
	s_andn2_b64 vcc, exec, s[62:63]
	s_cbranch_vccnz .LBB15_31
.LBB15_29:                              ;   in Loop: Header=BB15_9 Depth=1
	s_lshl_b32 s12, s14, 2
	s_add_u32 s12, s48, s12
	s_addc_u32 s13, s49, 0
	s_mul_i32 s14, s14, 12
	s_add_u32 s14, s42, s14
	s_addc_u32 s15, s43, 0
	s_mov_b32 s16, s9
.LBB15_30:                              ;   Parent Loop BB15_9 Depth=1
                                        ; =>  This Inner Loop Header: Depth=2
	s_load_dwordx2 s[18:19], s[14:15], 0x4
	s_load_dword s17, s[14:15], 0xc
	s_load_dword s28, s[12:13], 0x0
	s_add_u32 s14, s14, 12
	s_addc_u32 s15, s15, 0
	s_waitcnt lgkmcnt(0)
	v_mul_hi_u32 v5, s19, v8
	v_add_u32_e32 v5, v8, v5
	v_lshrrev_b32_e32 v5, s17, v5
	s_add_u32 s12, s12, 4
	v_mul_lo_u32 v9, v5, s18
	s_addc_u32 s13, s13, 0
	s_add_i32 s16, s16, -1
	v_sub_u32_e32 v9, v8, v9
	s_cmp_lg_u32 s16, 0
	v_mov_b32_e32 v8, v5
	v_mad_u64_u32 v[4:5], s[18:19], v9, s28, v[4:5]
	s_cbranch_scc1 .LBB15_30
.LBB15_31:                              ;   in Loop: Header=BB15_9 Depth=1
	s_cbranch_execnz .LBB15_34
.LBB15_32:                              ;   in Loop: Header=BB15_9 Depth=1
	v_mul_hi_u32 v4, v12, s6
	v_add_u32_e32 v4, v4, v12
	v_lshrrev_b32_e32 v5, s7, v4
	v_mul_lo_u32 v4, v5, s5
	v_sub_u32_e32 v4, v12, v4
	s_andn2_b64 vcc, exec, s[50:51]
	s_waitcnt lgkmcnt(0)
	v_mul_lo_u32 v4, v4, s52
	s_cbranch_vccnz .LBB15_34
; %bb.33:                               ;   in Loop: Header=BB15_9 Depth=1
	v_mul_hi_u32 v8, s4, v5
	v_add_u32_e32 v8, v5, v8
	v_lshrrev_b32_e32 v8, s10, v8
	v_mul_lo_u32 v8, v8, s8
	v_sub_u32_e32 v5, v5, v8
	v_mad_u64_u32 v[4:5], s[12:13], v5, s53, v[4:5]
.LBB15_34:                              ;   in Loop: Header=BB15_9 Depth=1
	v_mul_f32_e32 v5, 0.15915494, v3
	v_sin_f32_e32 v5, v5
	s_waitcnt lgkmcnt(0)
	v_mov_b32_e32 v8, s26
	v_mul_f32_e32 v5, v5, v37
	v_fma_f32 v5, s27, v5, v8
	v_mul_f32_e32 v8, 0x3fb8aa3b, v5
	v_fma_f32 v9, v5, s73, -v8
	v_rndne_f32_e32 v39, v8
	v_fmac_f32_e32 v9, 0x32a5705f, v5
	v_sub_f32_e32 v8, v8, v39
	v_add_f32_e32 v8, v8, v9
	v_cvt_i32_f32_e32 v9, v39
	v_exp_f32_e32 v8, v8
	v_cmp_ngt_f32_e32 vcc, s74, v5
	v_ldexp_f32 v8, v8, v9
	s_nop 0
	v_cndmask_b32_e32 v8, 0, v8, vcc
	v_cmp_nlt_f32_e32 vcc, s75, v5
	s_nop 1
	v_cndmask_b32_e32 v5, v29, v8, vcc
	v_bfe_u32 v8, v5, 16, 1
	v_add3_u32 v8, v5, v8, s76
	v_lshrrev_b32_e32 v8, 16, v8
	v_cmp_o_f32_e32 vcc, v5, v5
	s_nop 1
	v_cndmask_b32_e32 v5, v31, v8, vcc
	global_store_short v4, v5, s[24:25]
.LBB15_35:                              ;   in Loop: Header=BB15_9 Depth=1
	s_or_b64 exec, exec, s[2:3]
	v_lshl_add_u64 v[8:9], v[12:13], 0, s[22:23]
	v_cmp_gt_i64_e32 vcc, s[20:21], v[8:9]
	s_and_saveexec_b64 s[2:3], vcc
	s_cbranch_execz .LBB15_51
; %bb.36:                               ;   in Loop: Header=BB15_9 Depth=1
	s_and_b64 vcc, exec, s[0:1]
	s_cbranch_vccnz .LBB15_42
; %bb.37:                               ;   in Loop: Header=BB15_9 Depth=1
	s_andn2_b64 vcc, exec, s[46:47]
	s_cbranch_vccnz .LBB15_43
; %bb.38:                               ;   in Loop: Header=BB15_9 Depth=1
	s_mov_b32 s14, 0
	s_andn2_b64 vcc, exec, s[58:59]
	v_mov_b32_e32 v4, 0
	s_cbranch_vccnz .LBB15_44
; %bb.39:                               ;   in Loop: Header=BB15_9 Depth=1
	s_mov_b32 s77, 0
	v_mov_b32_e32 v4, 0
	s_mov_b64 s[64:65], s[42:43]
	s_mov_b64 s[66:67], s[48:49]
	v_mov_b32_e32 v9, v8
.LBB15_40:                              ;   Parent Loop BB15_9 Depth=1
                                        ; =>  This Inner Loop Header: Depth=2
	s_load_dwordx8 s[12:19], s[64:65], 0x4
	s_load_dwordx4 s[28:31], s[64:65], 0x24
	s_load_dwordx4 s[36:39], s[66:67], 0x0
	s_add_u32 s64, s64, 48
	s_addc_u32 s65, s65, 0
	s_waitcnt lgkmcnt(0)
	v_mul_hi_u32 v5, s13, v9
	v_add_u32_e32 v5, v9, v5
	v_lshrrev_b32_e32 v5, s14, v5
	v_mul_lo_u32 v39, v5, s12
	v_mul_hi_u32 v41, s16, v5
	v_sub_u32_e32 v9, v9, v39
	v_add_u32_e32 v39, v5, v41
	v_lshrrev_b32_e32 v39, s17, v39
	v_mul_lo_u32 v41, v39, s15
	v_mul_hi_u32 v43, s19, v39
	v_sub_u32_e32 v5, v5, v41
	v_add_u32_e32 v41, v39, v43
	v_mul_lo_u32 v9, v9, s36
	v_mul_lo_u32 v5, v5, s37
	v_lshrrev_b32_e32 v41, s28, v41
	v_add3_u32 v4, v9, v4, v5
	v_mul_hi_u32 v9, s30, v41
	v_add_u32_e32 v9, v41, v9
	v_mul_lo_u32 v5, v41, s18
	v_lshrrev_b32_e32 v9, s31, v9
	s_add_i32 s77, s77, 4
	v_sub_u32_e32 v5, v39, v5
	v_mul_lo_u32 v39, v9, s29
	s_add_u32 s66, s66, 16
	v_sub_u32_e32 v39, v41, v39
	s_addc_u32 s67, s67, 0
	v_mul_lo_u32 v5, v5, s38
	v_mul_lo_u32 v39, v39, s39
	s_cmp_eq_u32 s11, s77
	v_add3_u32 v4, v5, v4, v39
	s_cbranch_scc0 .LBB15_40
; %bb.41:                               ;   in Loop: Header=BB15_9 Depth=1
	s_mov_b32 s14, s11
	s_andn2_b64 vcc, exec, s[62:63]
	s_cbranch_vccz .LBB15_45
	s_branch .LBB15_47
.LBB15_42:                              ;   in Loop: Header=BB15_9 Depth=1
                                        ; implicit-def: $vgpr4
	s_branch .LBB15_48
.LBB15_43:                              ;   in Loop: Header=BB15_9 Depth=1
	v_mov_b32_e32 v4, 0
	s_branch .LBB15_47
.LBB15_44:                              ;   in Loop: Header=BB15_9 Depth=1
	v_mov_b32_e32 v9, v8
	s_andn2_b64 vcc, exec, s[62:63]
	s_cbranch_vccnz .LBB15_47
.LBB15_45:                              ;   in Loop: Header=BB15_9 Depth=1
	s_lshl_b32 s12, s14, 2
	s_add_u32 s12, s48, s12
	s_addc_u32 s13, s49, 0
	s_mul_i32 s14, s14, 12
	s_add_u32 s14, s42, s14
	s_addc_u32 s15, s43, 0
	s_mov_b32 s16, s9
.LBB15_46:                              ;   Parent Loop BB15_9 Depth=1
                                        ; =>  This Inner Loop Header: Depth=2
	s_load_dwordx2 s[18:19], s[14:15], 0x4
	s_load_dword s17, s[14:15], 0xc
	s_load_dword s28, s[12:13], 0x0
	s_add_u32 s14, s14, 12
	s_addc_u32 s15, s15, 0
	s_waitcnt lgkmcnt(0)
	v_mul_hi_u32 v5, s19, v9
	v_add_u32_e32 v5, v9, v5
	v_lshrrev_b32_e32 v5, s17, v5
	s_add_u32 s12, s12, 4
	v_mul_lo_u32 v39, v5, s18
	s_addc_u32 s13, s13, 0
	s_add_i32 s16, s16, -1
	v_sub_u32_e32 v39, v9, v39
	s_cmp_lg_u32 s16, 0
	v_mov_b32_e32 v9, v5
	v_mad_u64_u32 v[4:5], s[18:19], v39, s28, v[4:5]
	s_cbranch_scc1 .LBB15_46
.LBB15_47:                              ;   in Loop: Header=BB15_9 Depth=1
	s_cbranch_execnz .LBB15_50
.LBB15_48:                              ;   in Loop: Header=BB15_9 Depth=1
	v_mul_hi_u32 v4, v8, s6
	v_add_u32_e32 v4, v4, v8
	v_lshrrev_b32_e32 v5, s7, v4
	v_mul_lo_u32 v4, v5, s5
	v_sub_u32_e32 v4, v8, v4
	s_andn2_b64 vcc, exec, s[50:51]
	s_waitcnt lgkmcnt(0)
	v_mul_lo_u32 v4, v4, s52
	s_cbranch_vccnz .LBB15_50
; %bb.49:                               ;   in Loop: Header=BB15_9 Depth=1
	v_mul_hi_u32 v8, s4, v5
	v_add_u32_e32 v8, v5, v8
	v_lshrrev_b32_e32 v8, s10, v8
	v_mul_lo_u32 v8, v8, s8
	v_sub_u32_e32 v5, v5, v8
	v_mad_u64_u32 v[4:5], s[12:13], v5, s53, v[4:5]
.LBB15_50:                              ;   in Loop: Header=BB15_9 Depth=1
	v_mul_f32_e32 v3, 0.15915494, v3
	v_cos_f32_e32 v3, v3
	s_waitcnt lgkmcnt(0)
	v_mov_b32_e32 v5, s26
	v_mul_f32_e32 v3, v3, v37
	v_fma_f32 v3, s27, v3, v5
	v_mul_f32_e32 v5, 0x3fb8aa3b, v3
	v_fma_f32 v8, v3, s73, -v5
	v_rndne_f32_e32 v9, v5
	v_fmac_f32_e32 v8, 0x32a5705f, v3
	v_sub_f32_e32 v5, v5, v9
	v_add_f32_e32 v5, v5, v8
	v_cvt_i32_f32_e32 v8, v9
	v_exp_f32_e32 v5, v5
	v_cmp_ngt_f32_e32 vcc, s74, v3
	v_ldexp_f32 v5, v5, v8
	s_nop 0
	v_cndmask_b32_e32 v5, 0, v5, vcc
	v_cmp_nlt_f32_e32 vcc, s75, v3
	s_nop 1
	v_cndmask_b32_e32 v3, v29, v5, vcc
	v_bfe_u32 v5, v3, 16, 1
	v_add3_u32 v5, v3, v5, s76
	v_lshrrev_b32_e32 v5, 16, v5
	v_cmp_o_f32_e32 vcc, v3, v3
	s_nop 1
	v_cndmask_b32_e32 v3, v31, v5, vcc
	global_store_short v4, v3, s[24:25]
.LBB15_51:                              ;   in Loop: Header=BB15_9 Depth=1
	s_or_b64 exec, exec, s[2:3]
	v_cvt_f32_u32_e32 v3, v6
	v_fmamk_f32 v3, v3, 0x2f800000, v19
	v_cmp_gt_f32_e32 vcc, s69, v3
	s_nop 1
	v_cndmask_b32_e32 v4, 1.0, v25, vcc
	v_mul_f32_e32 v3, v3, v4
	v_log_f32_e32 v3, v3
	v_cvt_f32_u32_e32 v4, v7
	v_cndmask_b32_e32 v5, 0, v27, vcc
	v_mul_f32_e32 v6, 0x3f317217, v3
	v_fma_f32 v7, v3, s70, -v6
	v_fmac_f32_e32 v7, 0x3377d1cf, v3
	v_add_f32_e32 v6, v6, v7
	v_cmp_lt_f32_e64 vcc, |v3|, s71
	s_nop 1
	v_cndmask_b32_e32 v3, v3, v6, vcc
	v_sub_f32_e32 v3, v3, v5
	v_mul_f32_e32 v3, -2.0, v3
	v_mul_f32_e32 v5, 0x4f800000, v3
	v_cmp_gt_f32_e32 vcc, s72, v3
	s_nop 1
	v_cndmask_b32_e32 v5, v3, v5, vcc
	v_sqrt_f32_e32 v6, v5
	v_fmamk_f32 v3, v4, 0x30c90fdb, v21
	v_add_u32_e32 v4, -1, v6
	v_add_u32_e32 v7, 1, v6
	v_fma_f32 v8, -v4, v6, v5
	v_fma_f32 v9, -v7, v6, v5
	v_cmp_ge_f32_e64 s[2:3], 0, v8
	s_nop 1
	v_cndmask_b32_e64 v4, v6, v4, s[2:3]
	v_cmp_lt_f32_e64 s[2:3], 0, v9
	s_nop 1
	v_cndmask_b32_e64 v4, v4, v7, s[2:3]
	v_mul_f32_e32 v6, 0x37800000, v4
	v_cndmask_b32_e32 v4, v4, v6, vcc
	v_cmp_class_f32_e32 vcc, v5, v23
	v_lshl_add_u64 v[6:7], v[12:13], 0, s[54:55]
	s_nop 0
	v_cndmask_b32_e32 v8, v4, v5, vcc
	v_cmp_gt_i64_e32 vcc, s[20:21], v[6:7]
	s_and_saveexec_b64 s[2:3], vcc
	s_cbranch_execz .LBB15_67
; %bb.52:                               ;   in Loop: Header=BB15_9 Depth=1
	s_and_b64 vcc, exec, s[0:1]
	s_cbranch_vccnz .LBB15_58
; %bb.53:                               ;   in Loop: Header=BB15_9 Depth=1
	s_andn2_b64 vcc, exec, s[46:47]
	s_cbranch_vccnz .LBB15_59
; %bb.54:                               ;   in Loop: Header=BB15_9 Depth=1
	s_mov_b32 s14, 0
	s_andn2_b64 vcc, exec, s[58:59]
	v_mov_b32_e32 v4, 0
	s_cbranch_vccnz .LBB15_60
; %bb.55:                               ;   in Loop: Header=BB15_9 Depth=1
	s_mov_b32 s77, 0
	v_mov_b32_e32 v4, 0
	s_mov_b64 s[64:65], s[42:43]
	s_mov_b64 s[66:67], s[48:49]
	v_mov_b32_e32 v7, v6
.LBB15_56:                              ;   Parent Loop BB15_9 Depth=1
                                        ; =>  This Inner Loop Header: Depth=2
	s_load_dwordx8 s[12:19], s[64:65], 0x4
	s_load_dwordx4 s[28:31], s[64:65], 0x24
	s_load_dwordx4 s[36:39], s[66:67], 0x0
	s_add_u32 s64, s64, 48
	s_addc_u32 s65, s65, 0
	s_waitcnt lgkmcnt(0)
	v_mul_hi_u32 v5, s13, v7
	v_add_u32_e32 v5, v7, v5
	v_lshrrev_b32_e32 v5, s14, v5
	v_mul_lo_u32 v9, v5, s12
	v_mul_hi_u32 v37, s16, v5
	v_sub_u32_e32 v7, v7, v9
	v_add_u32_e32 v9, v5, v37
	v_lshrrev_b32_e32 v9, s17, v9
	v_mul_lo_u32 v37, v9, s15
	v_mul_hi_u32 v39, s19, v9
	v_sub_u32_e32 v5, v5, v37
	v_add_u32_e32 v37, v9, v39
	v_mul_lo_u32 v7, v7, s36
	v_mul_lo_u32 v5, v5, s37
	v_lshrrev_b32_e32 v37, s28, v37
	v_add3_u32 v4, v7, v4, v5
	v_mul_hi_u32 v7, s30, v37
	v_add_u32_e32 v7, v37, v7
	v_mul_lo_u32 v5, v37, s18
	v_lshrrev_b32_e32 v7, s31, v7
	s_add_i32 s77, s77, 4
	v_sub_u32_e32 v5, v9, v5
	v_mul_lo_u32 v9, v7, s29
	s_add_u32 s66, s66, 16
	v_sub_u32_e32 v9, v37, v9
	s_addc_u32 s67, s67, 0
	v_mul_lo_u32 v5, v5, s38
	v_mul_lo_u32 v9, v9, s39
	s_cmp_eq_u32 s11, s77
	v_add3_u32 v4, v5, v4, v9
	s_cbranch_scc0 .LBB15_56
; %bb.57:                               ;   in Loop: Header=BB15_9 Depth=1
	s_mov_b32 s14, s11
	s_andn2_b64 vcc, exec, s[62:63]
	s_cbranch_vccz .LBB15_61
	s_branch .LBB15_63
.LBB15_58:                              ;   in Loop: Header=BB15_9 Depth=1
                                        ; implicit-def: $vgpr4
	s_branch .LBB15_64
.LBB15_59:                              ;   in Loop: Header=BB15_9 Depth=1
	v_mov_b32_e32 v4, 0
	s_branch .LBB15_63
.LBB15_60:                              ;   in Loop: Header=BB15_9 Depth=1
	v_mov_b32_e32 v7, v6
	s_andn2_b64 vcc, exec, s[62:63]
	s_cbranch_vccnz .LBB15_63
.LBB15_61:                              ;   in Loop: Header=BB15_9 Depth=1
	s_lshl_b32 s12, s14, 2
	s_add_u32 s12, s48, s12
	s_addc_u32 s13, s49, 0
	s_mul_i32 s14, s14, 12
	s_add_u32 s14, s42, s14
	s_addc_u32 s15, s43, 0
	s_mov_b32 s16, s9
.LBB15_62:                              ;   Parent Loop BB15_9 Depth=1
                                        ; =>  This Inner Loop Header: Depth=2
	s_load_dwordx2 s[18:19], s[14:15], 0x4
	s_load_dword s17, s[14:15], 0xc
	s_load_dword s28, s[12:13], 0x0
	s_add_u32 s14, s14, 12
	s_addc_u32 s15, s15, 0
	s_waitcnt lgkmcnt(0)
	v_mul_hi_u32 v5, s19, v7
	v_add_u32_e32 v5, v7, v5
	v_lshrrev_b32_e32 v5, s17, v5
	s_add_u32 s12, s12, 4
	v_mul_lo_u32 v9, v5, s18
	s_addc_u32 s13, s13, 0
	s_add_i32 s16, s16, -1
	v_sub_u32_e32 v9, v7, v9
	s_cmp_lg_u32 s16, 0
	v_mov_b32_e32 v7, v5
	v_mad_u64_u32 v[4:5], s[18:19], v9, s28, v[4:5]
	s_cbranch_scc1 .LBB15_62
.LBB15_63:                              ;   in Loop: Header=BB15_9 Depth=1
	s_cbranch_execnz .LBB15_66
.LBB15_64:                              ;   in Loop: Header=BB15_9 Depth=1
	v_mul_hi_u32 v4, v6, s6
	v_add_u32_e32 v4, v4, v6
	v_lshrrev_b32_e32 v5, s7, v4
	v_mul_lo_u32 v4, v5, s5
	v_sub_u32_e32 v4, v6, v4
	s_andn2_b64 vcc, exec, s[50:51]
	s_waitcnt lgkmcnt(0)
	v_mul_lo_u32 v4, v4, s52
	s_cbranch_vccnz .LBB15_66
; %bb.65:                               ;   in Loop: Header=BB15_9 Depth=1
	v_mul_hi_u32 v6, s4, v5
	v_add_u32_e32 v6, v5, v6
	v_lshrrev_b32_e32 v6, s10, v6
	v_mul_lo_u32 v6, v6, s8
	v_sub_u32_e32 v5, v5, v6
	v_mad_u64_u32 v[4:5], s[12:13], v5, s53, v[4:5]
.LBB15_66:                              ;   in Loop: Header=BB15_9 Depth=1
	v_mul_f32_e32 v5, 0.15915494, v3
	v_sin_f32_e32 v5, v5
	s_waitcnt lgkmcnt(0)
	v_mov_b32_e32 v6, s26
	v_mul_f32_e32 v5, v5, v8
	v_fma_f32 v5, s27, v5, v6
	v_mul_f32_e32 v6, 0x3fb8aa3b, v5
	v_fma_f32 v7, v5, s73, -v6
	v_rndne_f32_e32 v9, v6
	v_fmac_f32_e32 v7, 0x32a5705f, v5
	v_sub_f32_e32 v6, v6, v9
	v_add_f32_e32 v6, v6, v7
	v_cvt_i32_f32_e32 v7, v9
	v_exp_f32_e32 v6, v6
	v_cmp_ngt_f32_e32 vcc, s74, v5
	v_ldexp_f32 v6, v6, v7
	s_nop 0
	v_cndmask_b32_e32 v6, 0, v6, vcc
	v_cmp_nlt_f32_e32 vcc, s75, v5
	s_nop 1
	v_cndmask_b32_e32 v5, v29, v6, vcc
	v_bfe_u32 v6, v5, 16, 1
	v_add3_u32 v6, v5, v6, s76
	v_lshrrev_b32_e32 v6, 16, v6
	v_cmp_o_f32_e32 vcc, v5, v5
	s_nop 1
	v_cndmask_b32_e32 v5, v31, v6, vcc
	global_store_short v4, v5, s[24:25]
.LBB15_67:                              ;   in Loop: Header=BB15_9 Depth=1
	s_or_b64 exec, exec, s[2:3]
	v_lshl_add_u64 v[6:7], v[12:13], 0, s[56:57]
	v_cmp_gt_i64_e32 vcc, s[20:21], v[6:7]
	s_and_saveexec_b64 s[36:37], vcc
	s_cbranch_execz .LBB15_8
; %bb.68:                               ;   in Loop: Header=BB15_9 Depth=1
	s_and_b64 vcc, exec, s[0:1]
	s_cbranch_vccnz .LBB15_74
; %bb.69:                               ;   in Loop: Header=BB15_9 Depth=1
	s_andn2_b64 vcc, exec, s[46:47]
	s_cbranch_vccnz .LBB15_75
; %bb.70:                               ;   in Loop: Header=BB15_9 Depth=1
	s_mov_b32 s2, 0
	s_andn2_b64 vcc, exec, s[58:59]
	v_mov_b32_e32 v4, 0
	s_cbranch_vccnz .LBB15_76
; %bb.71:                               ;   in Loop: Header=BB15_9 Depth=1
	s_mov_b32 s66, 0
	v_mov_b32_e32 v4, 0
	s_mov_b64 s[38:39], s[42:43]
	s_mov_b64 s[64:65], s[48:49]
	v_mov_b32_e32 v7, v6
.LBB15_72:                              ;   Parent Loop BB15_9 Depth=1
                                        ; =>  This Inner Loop Header: Depth=2
	s_load_dwordx8 s[12:19], s[38:39], 0x4
	s_load_dwordx4 s[0:3], s[38:39], 0x24
	s_load_dwordx4 s[28:31], s[64:65], 0x0
	s_add_u32 s38, s38, 48
	s_addc_u32 s39, s39, 0
	s_waitcnt lgkmcnt(0)
	v_mul_hi_u32 v5, s13, v7
	v_add_u32_e32 v5, v7, v5
	v_lshrrev_b32_e32 v5, s14, v5
	v_mul_lo_u32 v9, v5, s12
	v_mul_hi_u32 v37, s16, v5
	v_sub_u32_e32 v7, v7, v9
	v_add_u32_e32 v9, v5, v37
	v_lshrrev_b32_e32 v9, s17, v9
	v_mul_lo_u32 v37, v9, s15
	v_mul_hi_u32 v39, s19, v9
	v_sub_u32_e32 v5, v5, v37
	v_add_u32_e32 v37, v9, v39
	v_mul_lo_u32 v7, v7, s28
	v_mul_lo_u32 v5, v5, s29
	v_lshrrev_b32_e32 v37, s0, v37
	v_add3_u32 v4, v7, v4, v5
	v_mul_hi_u32 v7, s2, v37
	v_add_u32_e32 v7, v37, v7
	v_mul_lo_u32 v5, v37, s18
	v_lshrrev_b32_e32 v7, s3, v7
	s_add_i32 s66, s66, 4
	v_sub_u32_e32 v5, v9, v5
	v_mul_lo_u32 v9, v7, s1
	s_add_u32 s64, s64, 16
	v_sub_u32_e32 v9, v37, v9
	s_addc_u32 s65, s65, 0
	v_mul_lo_u32 v5, v5, s30
	v_mul_lo_u32 v9, v9, s31
	s_cmp_eq_u32 s11, s66
	v_add3_u32 v4, v5, v4, v9
	s_cbranch_scc0 .LBB15_72
; %bb.73:                               ;   in Loop: Header=BB15_9 Depth=1
	s_mov_b32 s2, s11
	s_andn2_b64 vcc, exec, s[62:63]
	s_cbranch_vccz .LBB15_77
	s_branch .LBB15_79
.LBB15_74:                              ;   in Loop: Header=BB15_9 Depth=1
                                        ; implicit-def: $vgpr4
	s_branch .LBB15_80
.LBB15_75:                              ;   in Loop: Header=BB15_9 Depth=1
	v_mov_b32_e32 v4, 0
	s_branch .LBB15_79
.LBB15_76:                              ;   in Loop: Header=BB15_9 Depth=1
	v_mov_b32_e32 v7, v6
	s_andn2_b64 vcc, exec, s[62:63]
	s_cbranch_vccnz .LBB15_79
.LBB15_77:                              ;   in Loop: Header=BB15_9 Depth=1
	s_lshl_b32 s0, s2, 2
	s_add_u32 s0, s48, s0
	s_addc_u32 s1, s49, 0
	s_mul_i32 s2, s2, 12
	s_add_u32 s2, s42, s2
	s_addc_u32 s3, s43, 0
	s_mov_b32 s12, s9
.LBB15_78:                              ;   Parent Loop BB15_9 Depth=1
                                        ; =>  This Inner Loop Header: Depth=2
	s_load_dwordx2 s[14:15], s[2:3], 0x4
	s_load_dword s13, s[2:3], 0xc
	s_load_dword s16, s[0:1], 0x0
	s_add_u32 s2, s2, 12
	s_addc_u32 s3, s3, 0
	s_waitcnt lgkmcnt(0)
	v_mul_hi_u32 v5, s15, v7
	v_add_u32_e32 v5, v7, v5
	v_lshrrev_b32_e32 v5, s13, v5
	s_add_u32 s0, s0, 4
	v_mul_lo_u32 v9, v5, s14
	s_addc_u32 s1, s1, 0
	s_add_i32 s12, s12, -1
	v_sub_u32_e32 v9, v7, v9
	s_cmp_lg_u32 s12, 0
	v_mov_b32_e32 v7, v5
	v_mad_u64_u32 v[4:5], s[14:15], v9, s16, v[4:5]
	s_cbranch_scc1 .LBB15_78
.LBB15_79:                              ;   in Loop: Header=BB15_9 Depth=1
	s_cbranch_execnz .LBB15_7
.LBB15_80:                              ;   in Loop: Header=BB15_9 Depth=1
	v_mul_hi_u32 v4, v6, s6
	v_add_u32_e32 v4, v4, v6
	v_lshrrev_b32_e32 v5, s7, v4
	v_mul_lo_u32 v4, v5, s5
	v_sub_u32_e32 v4, v6, v4
	s_andn2_b64 vcc, exec, s[50:51]
	s_waitcnt lgkmcnt(0)
	v_mul_lo_u32 v4, v4, s52
	s_cbranch_vccnz .LBB15_7
; %bb.81:                               ;   in Loop: Header=BB15_9 Depth=1
	v_mul_hi_u32 v6, s4, v5
	v_add_u32_e32 v6, v5, v6
	v_lshrrev_b32_e32 v6, s10, v6
	v_mul_lo_u32 v6, v6, s8
	v_sub_u32_e32 v5, v5, v6
	v_mad_u64_u32 v[4:5], s[0:1], v5, s53, v[4:5]
	s_branch .LBB15_7
.LBB15_82:
	s_endpgm
.LBB15_83:
                                        ; implicit-def: $sgpr6_sgpr7
	s_andn2_b64 vcc, exec, s[4:5]
	s_cbranch_vccz .LBB15_4
	s_branch .LBB15_5
	.section	.rodata,"a",@progbits
	.p2align	6, 0x0
	.amdhsa_kernel _ZN2at6native12_GLOBAL__N_143distribution_elementwise_grid_stride_kernelIfLi4EZNS0_9templates4cuda20normal_and_transformIN3c108BFloat16EfPNS_17CUDAGeneratorImplEZZZNS4_17log_normal_kernelIS9_EEvRNS_18TensorIteratorBaseEddT_ENKUlvE_clEvENKUlvE2_clEvEUlfE_EEvSC_T1_T2_EUlP25hiprandStatePhilox4_32_10E0_ZNS1_27distribution_nullary_kernelIS7_f15HIP_vector_typeIfLj4EES9_SL_SG_EEvSC_SI_RKT3_T4_EUlifE0_EEvlNS_15PhiloxCudaStateESH_SI_
		.amdhsa_group_segment_fixed_size 0
		.amdhsa_private_segment_fixed_size 0
		.amdhsa_kernarg_size 584
		.amdhsa_user_sgpr_count 2
		.amdhsa_user_sgpr_dispatch_ptr 0
		.amdhsa_user_sgpr_queue_ptr 0
		.amdhsa_user_sgpr_kernarg_segment_ptr 1
		.amdhsa_user_sgpr_dispatch_id 0
		.amdhsa_user_sgpr_kernarg_preload_length 0
		.amdhsa_user_sgpr_kernarg_preload_offset 0
		.amdhsa_user_sgpr_private_segment_size 0
		.amdhsa_uses_dynamic_stack 0
		.amdhsa_enable_private_segment 0
		.amdhsa_system_sgpr_workgroup_id_x 1
		.amdhsa_system_sgpr_workgroup_id_y 0
		.amdhsa_system_sgpr_workgroup_id_z 0
		.amdhsa_system_sgpr_workgroup_info 0
		.amdhsa_system_vgpr_workitem_id 0
		.amdhsa_next_free_vgpr 54
		.amdhsa_next_free_sgpr 78
		.amdhsa_accum_offset 56
		.amdhsa_reserve_vcc 1
		.amdhsa_float_round_mode_32 0
		.amdhsa_float_round_mode_16_64 0
		.amdhsa_float_denorm_mode_32 3
		.amdhsa_float_denorm_mode_16_64 3
		.amdhsa_dx10_clamp 1
		.amdhsa_ieee_mode 1
		.amdhsa_fp16_overflow 0
		.amdhsa_tg_split 0
		.amdhsa_exception_fp_ieee_invalid_op 0
		.amdhsa_exception_fp_denorm_src 0
		.amdhsa_exception_fp_ieee_div_zero 0
		.amdhsa_exception_fp_ieee_overflow 0
		.amdhsa_exception_fp_ieee_underflow 0
		.amdhsa_exception_fp_ieee_inexact 0
		.amdhsa_exception_int_div_zero 0
	.end_amdhsa_kernel
	.section	.text._ZN2at6native12_GLOBAL__N_143distribution_elementwise_grid_stride_kernelIfLi4EZNS0_9templates4cuda20normal_and_transformIN3c108BFloat16EfPNS_17CUDAGeneratorImplEZZZNS4_17log_normal_kernelIS9_EEvRNS_18TensorIteratorBaseEddT_ENKUlvE_clEvENKUlvE2_clEvEUlfE_EEvSC_T1_T2_EUlP25hiprandStatePhilox4_32_10E0_ZNS1_27distribution_nullary_kernelIS7_f15HIP_vector_typeIfLj4EES9_SL_SG_EEvSC_SI_RKT3_T4_EUlifE0_EEvlNS_15PhiloxCudaStateESH_SI_,"axG",@progbits,_ZN2at6native12_GLOBAL__N_143distribution_elementwise_grid_stride_kernelIfLi4EZNS0_9templates4cuda20normal_and_transformIN3c108BFloat16EfPNS_17CUDAGeneratorImplEZZZNS4_17log_normal_kernelIS9_EEvRNS_18TensorIteratorBaseEddT_ENKUlvE_clEvENKUlvE2_clEvEUlfE_EEvSC_T1_T2_EUlP25hiprandStatePhilox4_32_10E0_ZNS1_27distribution_nullary_kernelIS7_f15HIP_vector_typeIfLj4EES9_SL_SG_EEvSC_SI_RKT3_T4_EUlifE0_EEvlNS_15PhiloxCudaStateESH_SI_,comdat
.Lfunc_end15:
	.size	_ZN2at6native12_GLOBAL__N_143distribution_elementwise_grid_stride_kernelIfLi4EZNS0_9templates4cuda20normal_and_transformIN3c108BFloat16EfPNS_17CUDAGeneratorImplEZZZNS4_17log_normal_kernelIS9_EEvRNS_18TensorIteratorBaseEddT_ENKUlvE_clEvENKUlvE2_clEvEUlfE_EEvSC_T1_T2_EUlP25hiprandStatePhilox4_32_10E0_ZNS1_27distribution_nullary_kernelIS7_f15HIP_vector_typeIfLj4EES9_SL_SG_EEvSC_SI_RKT3_T4_EUlifE0_EEvlNS_15PhiloxCudaStateESH_SI_, .Lfunc_end15-_ZN2at6native12_GLOBAL__N_143distribution_elementwise_grid_stride_kernelIfLi4EZNS0_9templates4cuda20normal_and_transformIN3c108BFloat16EfPNS_17CUDAGeneratorImplEZZZNS4_17log_normal_kernelIS9_EEvRNS_18TensorIteratorBaseEddT_ENKUlvE_clEvENKUlvE2_clEvEUlfE_EEvSC_T1_T2_EUlP25hiprandStatePhilox4_32_10E0_ZNS1_27distribution_nullary_kernelIS7_f15HIP_vector_typeIfLj4EES9_SL_SG_EEvSC_SI_RKT3_T4_EUlifE0_EEvlNS_15PhiloxCudaStateESH_SI_
                                        ; -- End function
	.section	.AMDGPU.csdata,"",@progbits
; Kernel info:
; codeLenInByte = 5464
; NumSgprs: 84
; NumVgprs: 54
; NumAgprs: 0
; TotalNumVgprs: 54
; ScratchSize: 0
; MemoryBound: 0
; FloatMode: 240
; IeeeMode: 1
; LDSByteSize: 0 bytes/workgroup (compile time only)
; SGPRBlocks: 10
; VGPRBlocks: 6
; NumSGPRsForWavesPerEU: 84
; NumVGPRsForWavesPerEU: 54
; AccumOffset: 56
; Occupancy: 8
; WaveLimiterHint : 1
; COMPUTE_PGM_RSRC2:SCRATCH_EN: 0
; COMPUTE_PGM_RSRC2:USER_SGPR: 2
; COMPUTE_PGM_RSRC2:TRAP_HANDLER: 0
; COMPUTE_PGM_RSRC2:TGID_X_EN: 1
; COMPUTE_PGM_RSRC2:TGID_Y_EN: 0
; COMPUTE_PGM_RSRC2:TGID_Z_EN: 0
; COMPUTE_PGM_RSRC2:TIDIG_COMP_CNT: 0
; COMPUTE_PGM_RSRC3_GFX90A:ACCUM_OFFSET: 13
; COMPUTE_PGM_RSRC3_GFX90A:TG_SPLIT: 0
	.text
	.p2alignl 6, 3212836864
	.fill 256, 4, 3212836864
	.type	__hip_cuid_bc6792856667d57b,@object ; @__hip_cuid_bc6792856667d57b
	.section	.bss,"aw",@nobits
	.globl	__hip_cuid_bc6792856667d57b
__hip_cuid_bc6792856667d57b:
	.byte	0                               ; 0x0
	.size	__hip_cuid_bc6792856667d57b, 1

	.ident	"AMD clang version 19.0.0git (https://github.com/RadeonOpenCompute/llvm-project roc-6.4.0 25133 c7fe45cf4b819c5991fe208aaa96edf142730f1d)"
	.section	".note.GNU-stack","",@progbits
	.addrsig
	.addrsig_sym __hip_cuid_bc6792856667d57b
	.amdgpu_metadata
---
amdhsa.kernels:
  - .agpr_count:     0
    .args:
      - .offset:         0
        .size:           8
        .value_kind:     by_value
      - .offset:         8
        .size:           32
        .value_kind:     by_value
      - .offset:         40
        .size:           1
        .value_kind:     by_value
      - .offset:         48
        .size:           32
        .value_kind:     by_value
      - .offset:         80
        .size:           4
        .value_kind:     hidden_block_count_x
      - .offset:         84
        .size:           4
        .value_kind:     hidden_block_count_y
      - .offset:         88
        .size:           4
        .value_kind:     hidden_block_count_z
      - .offset:         92
        .size:           2
        .value_kind:     hidden_group_size_x
      - .offset:         94
        .size:           2
        .value_kind:     hidden_group_size_y
      - .offset:         96
        .size:           2
        .value_kind:     hidden_group_size_z
      - .offset:         98
        .size:           2
        .value_kind:     hidden_remainder_x
      - .offset:         100
        .size:           2
        .value_kind:     hidden_remainder_y
      - .offset:         102
        .size:           2
        .value_kind:     hidden_remainder_z
      - .offset:         120
        .size:           8
        .value_kind:     hidden_global_offset_x
      - .offset:         128
        .size:           8
        .value_kind:     hidden_global_offset_y
      - .offset:         136
        .size:           8
        .value_kind:     hidden_global_offset_z
      - .offset:         144
        .size:           2
        .value_kind:     hidden_grid_dims
    .group_segment_fixed_size: 0
    .kernarg_segment_align: 8
    .kernarg_segment_size: 336
    .language:       OpenCL C
    .language_version:
      - 2
      - 0
    .max_flat_workgroup_size: 256
    .name:           _ZN2at6native12_GLOBAL__N_143distribution_elementwise_grid_stride_kernelIdLi2EZNS0_9templates4cuda20normal_and_transformIddPNS_17CUDAGeneratorImplEZZZNS4_17log_normal_kernelIS7_EEvRNS_18TensorIteratorBaseEddT_ENKUlvE_clEvENKUlvE_clEvEUldE_EEvSA_T1_T2_EUlP25hiprandStatePhilox4_32_10E_ZNS1_27distribution_nullary_kernelIdd15HIP_vector_typeIdLj2EES7_SJ_SE_EEvSA_SG_RKT3_T4_EUlidE_EEvlNS_15PhiloxCudaStateESF_SG_
    .private_segment_fixed_size: 0
    .sgpr_count:     65
    .sgpr_spill_count: 0
    .symbol:         _ZN2at6native12_GLOBAL__N_143distribution_elementwise_grid_stride_kernelIdLi2EZNS0_9templates4cuda20normal_and_transformIddPNS_17CUDAGeneratorImplEZZZNS4_17log_normal_kernelIS7_EEvRNS_18TensorIteratorBaseEddT_ENKUlvE_clEvENKUlvE_clEvEUldE_EEvSA_T1_T2_EUlP25hiprandStatePhilox4_32_10E_ZNS1_27distribution_nullary_kernelIdd15HIP_vector_typeIdLj2EES7_SJ_SE_EEvSA_SG_RKT3_T4_EUlidE_EEvlNS_15PhiloxCudaStateESF_SG_.kd
    .uniform_work_group_size: 1
    .uses_dynamic_stack: false
    .vgpr_count:     120
    .vgpr_spill_count: 0
    .wavefront_size: 64
  - .agpr_count:     0
    .args:
      - .offset:         0
        .size:           8
        .value_kind:     by_value
      - .offset:         8
        .size:           32
        .value_kind:     by_value
      - .offset:         40
        .size:           1
        .value_kind:     by_value
      - .offset:         48
        .size:           288
        .value_kind:     by_value
      - .offset:         336
        .size:           4
        .value_kind:     hidden_block_count_x
      - .offset:         340
        .size:           4
        .value_kind:     hidden_block_count_y
      - .offset:         344
        .size:           4
        .value_kind:     hidden_block_count_z
      - .offset:         348
        .size:           2
        .value_kind:     hidden_group_size_x
      - .offset:         350
        .size:           2
        .value_kind:     hidden_group_size_y
      - .offset:         352
        .size:           2
        .value_kind:     hidden_group_size_z
      - .offset:         354
        .size:           2
        .value_kind:     hidden_remainder_x
      - .offset:         356
        .size:           2
        .value_kind:     hidden_remainder_y
      - .offset:         358
        .size:           2
        .value_kind:     hidden_remainder_z
      - .offset:         376
        .size:           8
        .value_kind:     hidden_global_offset_x
      - .offset:         384
        .size:           8
        .value_kind:     hidden_global_offset_y
      - .offset:         392
        .size:           8
        .value_kind:     hidden_global_offset_z
      - .offset:         400
        .size:           2
        .value_kind:     hidden_grid_dims
    .group_segment_fixed_size: 0
    .kernarg_segment_align: 8
    .kernarg_segment_size: 592
    .language:       OpenCL C
    .language_version:
      - 2
      - 0
    .max_flat_workgroup_size: 256
    .name:           _ZN2at6native12_GLOBAL__N_143distribution_elementwise_grid_stride_kernelIdLi2EZNS0_9templates4cuda20normal_and_transformIddPNS_17CUDAGeneratorImplEZZZNS4_17log_normal_kernelIS7_EEvRNS_18TensorIteratorBaseEddT_ENKUlvE_clEvENKUlvE_clEvEUldE_EEvSA_T1_T2_EUlP25hiprandStatePhilox4_32_10E_ZNS1_27distribution_nullary_kernelIdd15HIP_vector_typeIdLj2EES7_SJ_SE_EEvSA_SG_RKT3_T4_EUlidE0_EEvlNS_15PhiloxCudaStateESF_SG_
    .private_segment_fixed_size: 0
    .sgpr_count:     106
    .sgpr_spill_count: 0
    .symbol:         _ZN2at6native12_GLOBAL__N_143distribution_elementwise_grid_stride_kernelIdLi2EZNS0_9templates4cuda20normal_and_transformIddPNS_17CUDAGeneratorImplEZZZNS4_17log_normal_kernelIS7_EEvRNS_18TensorIteratorBaseEddT_ENKUlvE_clEvENKUlvE_clEvEUldE_EEvSA_T1_T2_EUlP25hiprandStatePhilox4_32_10E_ZNS1_27distribution_nullary_kernelIdd15HIP_vector_typeIdLj2EES7_SJ_SE_EEvSA_SG_RKT3_T4_EUlidE0_EEvlNS_15PhiloxCudaStateESF_SG_.kd
    .uniform_work_group_size: 1
    .uses_dynamic_stack: false
    .vgpr_count:     120
    .vgpr_spill_count: 0
    .wavefront_size: 64
  - .agpr_count:     0
    .args:
      - .offset:         0
        .size:           8
        .value_kind:     by_value
      - .offset:         8
        .size:           32
        .value_kind:     by_value
      - .offset:         40
        .size:           1
        .value_kind:     by_value
      - .offset:         48
        .size:           32
        .value_kind:     by_value
      - .offset:         80
        .size:           4
        .value_kind:     hidden_block_count_x
      - .offset:         84
        .size:           4
        .value_kind:     hidden_block_count_y
      - .offset:         88
        .size:           4
        .value_kind:     hidden_block_count_z
      - .offset:         92
        .size:           2
        .value_kind:     hidden_group_size_x
      - .offset:         94
        .size:           2
        .value_kind:     hidden_group_size_y
      - .offset:         96
        .size:           2
        .value_kind:     hidden_group_size_z
      - .offset:         98
        .size:           2
        .value_kind:     hidden_remainder_x
      - .offset:         100
        .size:           2
        .value_kind:     hidden_remainder_y
      - .offset:         102
        .size:           2
        .value_kind:     hidden_remainder_z
      - .offset:         120
        .size:           8
        .value_kind:     hidden_global_offset_x
      - .offset:         128
        .size:           8
        .value_kind:     hidden_global_offset_y
      - .offset:         136
        .size:           8
        .value_kind:     hidden_global_offset_z
      - .offset:         144
        .size:           2
        .value_kind:     hidden_grid_dims
    .group_segment_fixed_size: 0
    .kernarg_segment_align: 8
    .kernarg_segment_size: 336
    .language:       OpenCL C
    .language_version:
      - 2
      - 0
    .max_flat_workgroup_size: 256
    .name:           _ZN2at6native12_GLOBAL__N_143distribution_elementwise_grid_stride_kernelIdLi2EZNS0_9templates4cuda20normal_and_transformIddPNS_17CUDAGeneratorImplEZZZNS4_17log_normal_kernelIS7_EEvRNS_18TensorIteratorBaseEddT_ENKUlvE_clEvENKUlvE_clEvEUldE_EEvSA_T1_T2_EUlP25hiprandStatePhilox4_32_10E0_ZNS1_27distribution_nullary_kernelIdd15HIP_vector_typeIfLj4EES7_SJ_SE_EEvSA_SG_RKT3_T4_EUlidE_EEvlNS_15PhiloxCudaStateESF_SG_
    .private_segment_fixed_size: 0
    .sgpr_count:     47
    .sgpr_spill_count: 0
    .symbol:         _ZN2at6native12_GLOBAL__N_143distribution_elementwise_grid_stride_kernelIdLi2EZNS0_9templates4cuda20normal_and_transformIddPNS_17CUDAGeneratorImplEZZZNS4_17log_normal_kernelIS7_EEvRNS_18TensorIteratorBaseEddT_ENKUlvE_clEvENKUlvE_clEvEUldE_EEvSA_T1_T2_EUlP25hiprandStatePhilox4_32_10E0_ZNS1_27distribution_nullary_kernelIdd15HIP_vector_typeIfLj4EES7_SJ_SE_EEvSA_SG_RKT3_T4_EUlidE_EEvlNS_15PhiloxCudaStateESF_SG_.kd
    .uniform_work_group_size: 1
    .uses_dynamic_stack: false
    .vgpr_count:     78
    .vgpr_spill_count: 0
    .wavefront_size: 64
  - .agpr_count:     0
    .args:
      - .offset:         0
        .size:           8
        .value_kind:     by_value
      - .offset:         8
        .size:           32
        .value_kind:     by_value
      - .offset:         40
        .size:           1
        .value_kind:     by_value
      - .offset:         48
        .size:           288
        .value_kind:     by_value
      - .offset:         336
        .size:           4
        .value_kind:     hidden_block_count_x
      - .offset:         340
        .size:           4
        .value_kind:     hidden_block_count_y
      - .offset:         344
        .size:           4
        .value_kind:     hidden_block_count_z
      - .offset:         348
        .size:           2
        .value_kind:     hidden_group_size_x
      - .offset:         350
        .size:           2
        .value_kind:     hidden_group_size_y
      - .offset:         352
        .size:           2
        .value_kind:     hidden_group_size_z
      - .offset:         354
        .size:           2
        .value_kind:     hidden_remainder_x
      - .offset:         356
        .size:           2
        .value_kind:     hidden_remainder_y
      - .offset:         358
        .size:           2
        .value_kind:     hidden_remainder_z
      - .offset:         376
        .size:           8
        .value_kind:     hidden_global_offset_x
      - .offset:         384
        .size:           8
        .value_kind:     hidden_global_offset_y
      - .offset:         392
        .size:           8
        .value_kind:     hidden_global_offset_z
      - .offset:         400
        .size:           2
        .value_kind:     hidden_grid_dims
    .group_segment_fixed_size: 0
    .kernarg_segment_align: 8
    .kernarg_segment_size: 592
    .language:       OpenCL C
    .language_version:
      - 2
      - 0
    .max_flat_workgroup_size: 256
    .name:           _ZN2at6native12_GLOBAL__N_143distribution_elementwise_grid_stride_kernelIdLi2EZNS0_9templates4cuda20normal_and_transformIddPNS_17CUDAGeneratorImplEZZZNS4_17log_normal_kernelIS7_EEvRNS_18TensorIteratorBaseEddT_ENKUlvE_clEvENKUlvE_clEvEUldE_EEvSA_T1_T2_EUlP25hiprandStatePhilox4_32_10E0_ZNS1_27distribution_nullary_kernelIdd15HIP_vector_typeIfLj4EES7_SJ_SE_EEvSA_SG_RKT3_T4_EUlidE0_EEvlNS_15PhiloxCudaStateESF_SG_
    .private_segment_fixed_size: 0
    .sgpr_count:     90
    .sgpr_spill_count: 0
    .symbol:         _ZN2at6native12_GLOBAL__N_143distribution_elementwise_grid_stride_kernelIdLi2EZNS0_9templates4cuda20normal_and_transformIddPNS_17CUDAGeneratorImplEZZZNS4_17log_normal_kernelIS7_EEvRNS_18TensorIteratorBaseEddT_ENKUlvE_clEvENKUlvE_clEvEUldE_EEvSA_T1_T2_EUlP25hiprandStatePhilox4_32_10E0_ZNS1_27distribution_nullary_kernelIdd15HIP_vector_typeIfLj4EES7_SJ_SE_EEvSA_SG_RKT3_T4_EUlidE0_EEvlNS_15PhiloxCudaStateESF_SG_.kd
    .uniform_work_group_size: 1
    .uses_dynamic_stack: false
    .vgpr_count:     76
    .vgpr_spill_count: 0
    .wavefront_size: 64
  - .agpr_count:     0
    .args:
      - .offset:         0
        .size:           8
        .value_kind:     by_value
      - .offset:         8
        .size:           32
        .value_kind:     by_value
      - .offset:         40
        .size:           1
        .value_kind:     by_value
      - .offset:         48
        .size:           24
        .value_kind:     by_value
      - .offset:         72
        .size:           4
        .value_kind:     hidden_block_count_x
      - .offset:         76
        .size:           4
        .value_kind:     hidden_block_count_y
      - .offset:         80
        .size:           4
        .value_kind:     hidden_block_count_z
      - .offset:         84
        .size:           2
        .value_kind:     hidden_group_size_x
      - .offset:         86
        .size:           2
        .value_kind:     hidden_group_size_y
      - .offset:         88
        .size:           2
        .value_kind:     hidden_group_size_z
      - .offset:         90
        .size:           2
        .value_kind:     hidden_remainder_x
      - .offset:         92
        .size:           2
        .value_kind:     hidden_remainder_y
      - .offset:         94
        .size:           2
        .value_kind:     hidden_remainder_z
      - .offset:         112
        .size:           8
        .value_kind:     hidden_global_offset_x
      - .offset:         120
        .size:           8
        .value_kind:     hidden_global_offset_y
      - .offset:         128
        .size:           8
        .value_kind:     hidden_global_offset_z
      - .offset:         136
        .size:           2
        .value_kind:     hidden_grid_dims
    .group_segment_fixed_size: 0
    .kernarg_segment_align: 8
    .kernarg_segment_size: 328
    .language:       OpenCL C
    .language_version:
      - 2
      - 0
    .max_flat_workgroup_size: 256
    .name:           _ZN2at6native12_GLOBAL__N_143distribution_elementwise_grid_stride_kernelIfLi4EZNS0_9templates4cuda20normal_and_transformIffPNS_17CUDAGeneratorImplEZZZNS4_17log_normal_kernelIS7_EEvRNS_18TensorIteratorBaseEddT_ENKUlvE_clEvENKUlvE0_clEvEUlfE_EEvSA_T1_T2_EUlP25hiprandStatePhilox4_32_10E_ZNS1_27distribution_nullary_kernelIff15HIP_vector_typeIdLj2EES7_SJ_SE_EEvSA_SG_RKT3_T4_EUlifE_EEvlNS_15PhiloxCudaStateESF_SG_
    .private_segment_fixed_size: 0
    .sgpr_count:     56
    .sgpr_spill_count: 0
    .symbol:         _ZN2at6native12_GLOBAL__N_143distribution_elementwise_grid_stride_kernelIfLi4EZNS0_9templates4cuda20normal_and_transformIffPNS_17CUDAGeneratorImplEZZZNS4_17log_normal_kernelIS7_EEvRNS_18TensorIteratorBaseEddT_ENKUlvE_clEvENKUlvE0_clEvEUlfE_EEvSA_T1_T2_EUlP25hiprandStatePhilox4_32_10E_ZNS1_27distribution_nullary_kernelIff15HIP_vector_typeIdLj2EES7_SJ_SE_EEvSA_SG_RKT3_T4_EUlifE_EEvlNS_15PhiloxCudaStateESF_SG_.kd
    .uniform_work_group_size: 1
    .uses_dynamic_stack: false
    .vgpr_count:     102
    .vgpr_spill_count: 0
    .wavefront_size: 64
  - .agpr_count:     0
    .args:
      - .offset:         0
        .size:           8
        .value_kind:     by_value
      - .offset:         8
        .size:           32
        .value_kind:     by_value
      - .offset:         40
        .size:           1
        .value_kind:     by_value
      - .offset:         48
        .size:           280
        .value_kind:     by_value
      - .offset:         328
        .size:           4
        .value_kind:     hidden_block_count_x
      - .offset:         332
        .size:           4
        .value_kind:     hidden_block_count_y
      - .offset:         336
        .size:           4
        .value_kind:     hidden_block_count_z
      - .offset:         340
        .size:           2
        .value_kind:     hidden_group_size_x
      - .offset:         342
        .size:           2
        .value_kind:     hidden_group_size_y
      - .offset:         344
        .size:           2
        .value_kind:     hidden_group_size_z
      - .offset:         346
        .size:           2
        .value_kind:     hidden_remainder_x
      - .offset:         348
        .size:           2
        .value_kind:     hidden_remainder_y
      - .offset:         350
        .size:           2
        .value_kind:     hidden_remainder_z
      - .offset:         368
        .size:           8
        .value_kind:     hidden_global_offset_x
      - .offset:         376
        .size:           8
        .value_kind:     hidden_global_offset_y
      - .offset:         384
        .size:           8
        .value_kind:     hidden_global_offset_z
      - .offset:         392
        .size:           2
        .value_kind:     hidden_grid_dims
    .group_segment_fixed_size: 0
    .kernarg_segment_align: 8
    .kernarg_segment_size: 584
    .language:       OpenCL C
    .language_version:
      - 2
      - 0
    .max_flat_workgroup_size: 256
    .name:           _ZN2at6native12_GLOBAL__N_143distribution_elementwise_grid_stride_kernelIfLi4EZNS0_9templates4cuda20normal_and_transformIffPNS_17CUDAGeneratorImplEZZZNS4_17log_normal_kernelIS7_EEvRNS_18TensorIteratorBaseEddT_ENKUlvE_clEvENKUlvE0_clEvEUlfE_EEvSA_T1_T2_EUlP25hiprandStatePhilox4_32_10E_ZNS1_27distribution_nullary_kernelIff15HIP_vector_typeIdLj2EES7_SJ_SE_EEvSA_SG_RKT3_T4_EUlifE0_EEvlNS_15PhiloxCudaStateESF_SG_
    .private_segment_fixed_size: 0
    .sgpr_count:     101
    .sgpr_spill_count: 0
    .symbol:         _ZN2at6native12_GLOBAL__N_143distribution_elementwise_grid_stride_kernelIfLi4EZNS0_9templates4cuda20normal_and_transformIffPNS_17CUDAGeneratorImplEZZZNS4_17log_normal_kernelIS7_EEvRNS_18TensorIteratorBaseEddT_ENKUlvE_clEvENKUlvE0_clEvEUlfE_EEvSA_T1_T2_EUlP25hiprandStatePhilox4_32_10E_ZNS1_27distribution_nullary_kernelIff15HIP_vector_typeIdLj2EES7_SJ_SE_EEvSA_SG_RKT3_T4_EUlifE0_EEvlNS_15PhiloxCudaStateESF_SG_.kd
    .uniform_work_group_size: 1
    .uses_dynamic_stack: false
    .vgpr_count:     102
    .vgpr_spill_count: 0
    .wavefront_size: 64
  - .agpr_count:     0
    .args:
      - .offset:         0
        .size:           8
        .value_kind:     by_value
      - .offset:         8
        .size:           32
        .value_kind:     by_value
      - .offset:         40
        .size:           1
        .value_kind:     by_value
      - .offset:         48
        .size:           24
        .value_kind:     by_value
      - .offset:         72
        .size:           4
        .value_kind:     hidden_block_count_x
      - .offset:         76
        .size:           4
        .value_kind:     hidden_block_count_y
      - .offset:         80
        .size:           4
        .value_kind:     hidden_block_count_z
      - .offset:         84
        .size:           2
        .value_kind:     hidden_group_size_x
      - .offset:         86
        .size:           2
        .value_kind:     hidden_group_size_y
      - .offset:         88
        .size:           2
        .value_kind:     hidden_group_size_z
      - .offset:         90
        .size:           2
        .value_kind:     hidden_remainder_x
      - .offset:         92
        .size:           2
        .value_kind:     hidden_remainder_y
      - .offset:         94
        .size:           2
        .value_kind:     hidden_remainder_z
      - .offset:         112
        .size:           8
        .value_kind:     hidden_global_offset_x
      - .offset:         120
        .size:           8
        .value_kind:     hidden_global_offset_y
      - .offset:         128
        .size:           8
        .value_kind:     hidden_global_offset_z
      - .offset:         136
        .size:           2
        .value_kind:     hidden_grid_dims
    .group_segment_fixed_size: 0
    .kernarg_segment_align: 8
    .kernarg_segment_size: 328
    .language:       OpenCL C
    .language_version:
      - 2
      - 0
    .max_flat_workgroup_size: 256
    .name:           _ZN2at6native12_GLOBAL__N_143distribution_elementwise_grid_stride_kernelIfLi4EZNS0_9templates4cuda20normal_and_transformIffPNS_17CUDAGeneratorImplEZZZNS4_17log_normal_kernelIS7_EEvRNS_18TensorIteratorBaseEddT_ENKUlvE_clEvENKUlvE0_clEvEUlfE_EEvSA_T1_T2_EUlP25hiprandStatePhilox4_32_10E0_ZNS1_27distribution_nullary_kernelIff15HIP_vector_typeIfLj4EES7_SJ_SE_EEvSA_SG_RKT3_T4_EUlifE_EEvlNS_15PhiloxCudaStateESF_SG_
    .private_segment_fixed_size: 0
    .sgpr_count:     40
    .sgpr_spill_count: 0
    .symbol:         _ZN2at6native12_GLOBAL__N_143distribution_elementwise_grid_stride_kernelIfLi4EZNS0_9templates4cuda20normal_and_transformIffPNS_17CUDAGeneratorImplEZZZNS4_17log_normal_kernelIS7_EEvRNS_18TensorIteratorBaseEddT_ENKUlvE_clEvENKUlvE0_clEvEUlfE_EEvSA_T1_T2_EUlP25hiprandStatePhilox4_32_10E0_ZNS1_27distribution_nullary_kernelIff15HIP_vector_typeIfLj4EES7_SJ_SE_EEvSA_SG_RKT3_T4_EUlifE_EEvlNS_15PhiloxCudaStateESF_SG_.kd
    .uniform_work_group_size: 1
    .uses_dynamic_stack: false
    .vgpr_count:     56
    .vgpr_spill_count: 0
    .wavefront_size: 64
  - .agpr_count:     0
    .args:
      - .offset:         0
        .size:           8
        .value_kind:     by_value
      - .offset:         8
        .size:           32
        .value_kind:     by_value
      - .offset:         40
        .size:           1
        .value_kind:     by_value
      - .offset:         48
        .size:           280
        .value_kind:     by_value
      - .offset:         328
        .size:           4
        .value_kind:     hidden_block_count_x
      - .offset:         332
        .size:           4
        .value_kind:     hidden_block_count_y
      - .offset:         336
        .size:           4
        .value_kind:     hidden_block_count_z
      - .offset:         340
        .size:           2
        .value_kind:     hidden_group_size_x
      - .offset:         342
        .size:           2
        .value_kind:     hidden_group_size_y
      - .offset:         344
        .size:           2
        .value_kind:     hidden_group_size_z
      - .offset:         346
        .size:           2
        .value_kind:     hidden_remainder_x
      - .offset:         348
        .size:           2
        .value_kind:     hidden_remainder_y
      - .offset:         350
        .size:           2
        .value_kind:     hidden_remainder_z
      - .offset:         368
        .size:           8
        .value_kind:     hidden_global_offset_x
      - .offset:         376
        .size:           8
        .value_kind:     hidden_global_offset_y
      - .offset:         384
        .size:           8
        .value_kind:     hidden_global_offset_z
      - .offset:         392
        .size:           2
        .value_kind:     hidden_grid_dims
    .group_segment_fixed_size: 0
    .kernarg_segment_align: 8
    .kernarg_segment_size: 584
    .language:       OpenCL C
    .language_version:
      - 2
      - 0
    .max_flat_workgroup_size: 256
    .name:           _ZN2at6native12_GLOBAL__N_143distribution_elementwise_grid_stride_kernelIfLi4EZNS0_9templates4cuda20normal_and_transformIffPNS_17CUDAGeneratorImplEZZZNS4_17log_normal_kernelIS7_EEvRNS_18TensorIteratorBaseEddT_ENKUlvE_clEvENKUlvE0_clEvEUlfE_EEvSA_T1_T2_EUlP25hiprandStatePhilox4_32_10E0_ZNS1_27distribution_nullary_kernelIff15HIP_vector_typeIfLj4EES7_SJ_SE_EEvSA_SG_RKT3_T4_EUlifE0_EEvlNS_15PhiloxCudaStateESF_SG_
    .private_segment_fixed_size: 0
    .sgpr_count:     83
    .sgpr_spill_count: 0
    .symbol:         _ZN2at6native12_GLOBAL__N_143distribution_elementwise_grid_stride_kernelIfLi4EZNS0_9templates4cuda20normal_and_transformIffPNS_17CUDAGeneratorImplEZZZNS4_17log_normal_kernelIS7_EEvRNS_18TensorIteratorBaseEddT_ENKUlvE_clEvENKUlvE0_clEvEUlfE_EEvSA_T1_T2_EUlP25hiprandStatePhilox4_32_10E0_ZNS1_27distribution_nullary_kernelIff15HIP_vector_typeIfLj4EES7_SJ_SE_EEvSA_SG_RKT3_T4_EUlifE0_EEvlNS_15PhiloxCudaStateESF_SG_.kd
    .uniform_work_group_size: 1
    .uses_dynamic_stack: false
    .vgpr_count:     54
    .vgpr_spill_count: 0
    .wavefront_size: 64
  - .agpr_count:     0
    .args:
      - .offset:         0
        .size:           8
        .value_kind:     by_value
      - .offset:         8
        .size:           32
        .value_kind:     by_value
      - .offset:         40
        .size:           1
        .value_kind:     by_value
      - .offset:         48
        .size:           24
        .value_kind:     by_value
      - .offset:         72
        .size:           4
        .value_kind:     hidden_block_count_x
      - .offset:         76
        .size:           4
        .value_kind:     hidden_block_count_y
      - .offset:         80
        .size:           4
        .value_kind:     hidden_block_count_z
      - .offset:         84
        .size:           2
        .value_kind:     hidden_group_size_x
      - .offset:         86
        .size:           2
        .value_kind:     hidden_group_size_y
      - .offset:         88
        .size:           2
        .value_kind:     hidden_group_size_z
      - .offset:         90
        .size:           2
        .value_kind:     hidden_remainder_x
      - .offset:         92
        .size:           2
        .value_kind:     hidden_remainder_y
      - .offset:         94
        .size:           2
        .value_kind:     hidden_remainder_z
      - .offset:         112
        .size:           8
        .value_kind:     hidden_global_offset_x
      - .offset:         120
        .size:           8
        .value_kind:     hidden_global_offset_y
      - .offset:         128
        .size:           8
        .value_kind:     hidden_global_offset_z
      - .offset:         136
        .size:           2
        .value_kind:     hidden_grid_dims
    .group_segment_fixed_size: 0
    .kernarg_segment_align: 8
    .kernarg_segment_size: 328
    .language:       OpenCL C
    .language_version:
      - 2
      - 0
    .max_flat_workgroup_size: 256
    .name:           _ZN2at6native12_GLOBAL__N_143distribution_elementwise_grid_stride_kernelIfLi4EZNS0_9templates4cuda20normal_and_transformIN3c104HalfEfPNS_17CUDAGeneratorImplEZZZNS4_17log_normal_kernelIS9_EEvRNS_18TensorIteratorBaseEddT_ENKUlvE_clEvENKUlvE1_clEvEUlfE_EEvSC_T1_T2_EUlP25hiprandStatePhilox4_32_10E_ZNS1_27distribution_nullary_kernelIS7_f15HIP_vector_typeIdLj2EES9_SL_SG_EEvSC_SI_RKT3_T4_EUlifE_EEvlNS_15PhiloxCudaStateESH_SI_
    .private_segment_fixed_size: 0
    .sgpr_count:     56
    .sgpr_spill_count: 0
    .symbol:         _ZN2at6native12_GLOBAL__N_143distribution_elementwise_grid_stride_kernelIfLi4EZNS0_9templates4cuda20normal_and_transformIN3c104HalfEfPNS_17CUDAGeneratorImplEZZZNS4_17log_normal_kernelIS9_EEvRNS_18TensorIteratorBaseEddT_ENKUlvE_clEvENKUlvE1_clEvEUlfE_EEvSC_T1_T2_EUlP25hiprandStatePhilox4_32_10E_ZNS1_27distribution_nullary_kernelIS7_f15HIP_vector_typeIdLj2EES9_SL_SG_EEvSC_SI_RKT3_T4_EUlifE_EEvlNS_15PhiloxCudaStateESH_SI_.kd
    .uniform_work_group_size: 1
    .uses_dynamic_stack: false
    .vgpr_count:     102
    .vgpr_spill_count: 0
    .wavefront_size: 64
  - .agpr_count:     0
    .args:
      - .offset:         0
        .size:           8
        .value_kind:     by_value
      - .offset:         8
        .size:           32
        .value_kind:     by_value
      - .offset:         40
        .size:           1
        .value_kind:     by_value
      - .offset:         48
        .size:           280
        .value_kind:     by_value
      - .offset:         328
        .size:           4
        .value_kind:     hidden_block_count_x
      - .offset:         332
        .size:           4
        .value_kind:     hidden_block_count_y
      - .offset:         336
        .size:           4
        .value_kind:     hidden_block_count_z
      - .offset:         340
        .size:           2
        .value_kind:     hidden_group_size_x
      - .offset:         342
        .size:           2
        .value_kind:     hidden_group_size_y
      - .offset:         344
        .size:           2
        .value_kind:     hidden_group_size_z
      - .offset:         346
        .size:           2
        .value_kind:     hidden_remainder_x
      - .offset:         348
        .size:           2
        .value_kind:     hidden_remainder_y
      - .offset:         350
        .size:           2
        .value_kind:     hidden_remainder_z
      - .offset:         368
        .size:           8
        .value_kind:     hidden_global_offset_x
      - .offset:         376
        .size:           8
        .value_kind:     hidden_global_offset_y
      - .offset:         384
        .size:           8
        .value_kind:     hidden_global_offset_z
      - .offset:         392
        .size:           2
        .value_kind:     hidden_grid_dims
    .group_segment_fixed_size: 0
    .kernarg_segment_align: 8
    .kernarg_segment_size: 584
    .language:       OpenCL C
    .language_version:
      - 2
      - 0
    .max_flat_workgroup_size: 256
    .name:           _ZN2at6native12_GLOBAL__N_143distribution_elementwise_grid_stride_kernelIfLi4EZNS0_9templates4cuda20normal_and_transformIN3c104HalfEfPNS_17CUDAGeneratorImplEZZZNS4_17log_normal_kernelIS9_EEvRNS_18TensorIteratorBaseEddT_ENKUlvE_clEvENKUlvE1_clEvEUlfE_EEvSC_T1_T2_EUlP25hiprandStatePhilox4_32_10E_ZNS1_27distribution_nullary_kernelIS7_f15HIP_vector_typeIdLj2EES9_SL_SG_EEvSC_SI_RKT3_T4_EUlifE0_EEvlNS_15PhiloxCudaStateESH_SI_
    .private_segment_fixed_size: 0
    .sgpr_count:     101
    .sgpr_spill_count: 0
    .symbol:         _ZN2at6native12_GLOBAL__N_143distribution_elementwise_grid_stride_kernelIfLi4EZNS0_9templates4cuda20normal_and_transformIN3c104HalfEfPNS_17CUDAGeneratorImplEZZZNS4_17log_normal_kernelIS9_EEvRNS_18TensorIteratorBaseEddT_ENKUlvE_clEvENKUlvE1_clEvEUlfE_EEvSC_T1_T2_EUlP25hiprandStatePhilox4_32_10E_ZNS1_27distribution_nullary_kernelIS7_f15HIP_vector_typeIdLj2EES9_SL_SG_EEvSC_SI_RKT3_T4_EUlifE0_EEvlNS_15PhiloxCudaStateESH_SI_.kd
    .uniform_work_group_size: 1
    .uses_dynamic_stack: false
    .vgpr_count:     102
    .vgpr_spill_count: 0
    .wavefront_size: 64
  - .agpr_count:     0
    .args:
      - .offset:         0
        .size:           8
        .value_kind:     by_value
      - .offset:         8
        .size:           32
        .value_kind:     by_value
      - .offset:         40
        .size:           1
        .value_kind:     by_value
      - .offset:         48
        .size:           24
        .value_kind:     by_value
      - .offset:         72
        .size:           4
        .value_kind:     hidden_block_count_x
      - .offset:         76
        .size:           4
        .value_kind:     hidden_block_count_y
      - .offset:         80
        .size:           4
        .value_kind:     hidden_block_count_z
      - .offset:         84
        .size:           2
        .value_kind:     hidden_group_size_x
      - .offset:         86
        .size:           2
        .value_kind:     hidden_group_size_y
      - .offset:         88
        .size:           2
        .value_kind:     hidden_group_size_z
      - .offset:         90
        .size:           2
        .value_kind:     hidden_remainder_x
      - .offset:         92
        .size:           2
        .value_kind:     hidden_remainder_y
      - .offset:         94
        .size:           2
        .value_kind:     hidden_remainder_z
      - .offset:         112
        .size:           8
        .value_kind:     hidden_global_offset_x
      - .offset:         120
        .size:           8
        .value_kind:     hidden_global_offset_y
      - .offset:         128
        .size:           8
        .value_kind:     hidden_global_offset_z
      - .offset:         136
        .size:           2
        .value_kind:     hidden_grid_dims
    .group_segment_fixed_size: 0
    .kernarg_segment_align: 8
    .kernarg_segment_size: 328
    .language:       OpenCL C
    .language_version:
      - 2
      - 0
    .max_flat_workgroup_size: 256
    .name:           _ZN2at6native12_GLOBAL__N_143distribution_elementwise_grid_stride_kernelIfLi4EZNS0_9templates4cuda20normal_and_transformIN3c104HalfEfPNS_17CUDAGeneratorImplEZZZNS4_17log_normal_kernelIS9_EEvRNS_18TensorIteratorBaseEddT_ENKUlvE_clEvENKUlvE1_clEvEUlfE_EEvSC_T1_T2_EUlP25hiprandStatePhilox4_32_10E0_ZNS1_27distribution_nullary_kernelIS7_f15HIP_vector_typeIfLj4EES9_SL_SG_EEvSC_SI_RKT3_T4_EUlifE_EEvlNS_15PhiloxCudaStateESH_SI_
    .private_segment_fixed_size: 0
    .sgpr_count:     40
    .sgpr_spill_count: 0
    .symbol:         _ZN2at6native12_GLOBAL__N_143distribution_elementwise_grid_stride_kernelIfLi4EZNS0_9templates4cuda20normal_and_transformIN3c104HalfEfPNS_17CUDAGeneratorImplEZZZNS4_17log_normal_kernelIS9_EEvRNS_18TensorIteratorBaseEddT_ENKUlvE_clEvENKUlvE1_clEvEUlfE_EEvSC_T1_T2_EUlP25hiprandStatePhilox4_32_10E0_ZNS1_27distribution_nullary_kernelIS7_f15HIP_vector_typeIfLj4EES9_SL_SG_EEvSC_SI_RKT3_T4_EUlifE_EEvlNS_15PhiloxCudaStateESH_SI_.kd
    .uniform_work_group_size: 1
    .uses_dynamic_stack: false
    .vgpr_count:     56
    .vgpr_spill_count: 0
    .wavefront_size: 64
  - .agpr_count:     0
    .args:
      - .offset:         0
        .size:           8
        .value_kind:     by_value
      - .offset:         8
        .size:           32
        .value_kind:     by_value
      - .offset:         40
        .size:           1
        .value_kind:     by_value
      - .offset:         48
        .size:           280
        .value_kind:     by_value
      - .offset:         328
        .size:           4
        .value_kind:     hidden_block_count_x
      - .offset:         332
        .size:           4
        .value_kind:     hidden_block_count_y
      - .offset:         336
        .size:           4
        .value_kind:     hidden_block_count_z
      - .offset:         340
        .size:           2
        .value_kind:     hidden_group_size_x
      - .offset:         342
        .size:           2
        .value_kind:     hidden_group_size_y
      - .offset:         344
        .size:           2
        .value_kind:     hidden_group_size_z
      - .offset:         346
        .size:           2
        .value_kind:     hidden_remainder_x
      - .offset:         348
        .size:           2
        .value_kind:     hidden_remainder_y
      - .offset:         350
        .size:           2
        .value_kind:     hidden_remainder_z
      - .offset:         368
        .size:           8
        .value_kind:     hidden_global_offset_x
      - .offset:         376
        .size:           8
        .value_kind:     hidden_global_offset_y
      - .offset:         384
        .size:           8
        .value_kind:     hidden_global_offset_z
      - .offset:         392
        .size:           2
        .value_kind:     hidden_grid_dims
    .group_segment_fixed_size: 0
    .kernarg_segment_align: 8
    .kernarg_segment_size: 584
    .language:       OpenCL C
    .language_version:
      - 2
      - 0
    .max_flat_workgroup_size: 256
    .name:           _ZN2at6native12_GLOBAL__N_143distribution_elementwise_grid_stride_kernelIfLi4EZNS0_9templates4cuda20normal_and_transformIN3c104HalfEfPNS_17CUDAGeneratorImplEZZZNS4_17log_normal_kernelIS9_EEvRNS_18TensorIteratorBaseEddT_ENKUlvE_clEvENKUlvE1_clEvEUlfE_EEvSC_T1_T2_EUlP25hiprandStatePhilox4_32_10E0_ZNS1_27distribution_nullary_kernelIS7_f15HIP_vector_typeIfLj4EES9_SL_SG_EEvSC_SI_RKT3_T4_EUlifE0_EEvlNS_15PhiloxCudaStateESH_SI_
    .private_segment_fixed_size: 0
    .sgpr_count:     83
    .sgpr_spill_count: 0
    .symbol:         _ZN2at6native12_GLOBAL__N_143distribution_elementwise_grid_stride_kernelIfLi4EZNS0_9templates4cuda20normal_and_transformIN3c104HalfEfPNS_17CUDAGeneratorImplEZZZNS4_17log_normal_kernelIS9_EEvRNS_18TensorIteratorBaseEddT_ENKUlvE_clEvENKUlvE1_clEvEUlfE_EEvSC_T1_T2_EUlP25hiprandStatePhilox4_32_10E0_ZNS1_27distribution_nullary_kernelIS7_f15HIP_vector_typeIfLj4EES9_SL_SG_EEvSC_SI_RKT3_T4_EUlifE0_EEvlNS_15PhiloxCudaStateESH_SI_.kd
    .uniform_work_group_size: 1
    .uses_dynamic_stack: false
    .vgpr_count:     54
    .vgpr_spill_count: 0
    .wavefront_size: 64
  - .agpr_count:     0
    .args:
      - .offset:         0
        .size:           8
        .value_kind:     by_value
      - .offset:         8
        .size:           32
        .value_kind:     by_value
      - .offset:         40
        .size:           1
        .value_kind:     by_value
      - .offset:         48
        .size:           24
        .value_kind:     by_value
      - .offset:         72
        .size:           4
        .value_kind:     hidden_block_count_x
      - .offset:         76
        .size:           4
        .value_kind:     hidden_block_count_y
      - .offset:         80
        .size:           4
        .value_kind:     hidden_block_count_z
      - .offset:         84
        .size:           2
        .value_kind:     hidden_group_size_x
      - .offset:         86
        .size:           2
        .value_kind:     hidden_group_size_y
      - .offset:         88
        .size:           2
        .value_kind:     hidden_group_size_z
      - .offset:         90
        .size:           2
        .value_kind:     hidden_remainder_x
      - .offset:         92
        .size:           2
        .value_kind:     hidden_remainder_y
      - .offset:         94
        .size:           2
        .value_kind:     hidden_remainder_z
      - .offset:         112
        .size:           8
        .value_kind:     hidden_global_offset_x
      - .offset:         120
        .size:           8
        .value_kind:     hidden_global_offset_y
      - .offset:         128
        .size:           8
        .value_kind:     hidden_global_offset_z
      - .offset:         136
        .size:           2
        .value_kind:     hidden_grid_dims
    .group_segment_fixed_size: 0
    .kernarg_segment_align: 8
    .kernarg_segment_size: 328
    .language:       OpenCL C
    .language_version:
      - 2
      - 0
    .max_flat_workgroup_size: 256
    .name:           _ZN2at6native12_GLOBAL__N_143distribution_elementwise_grid_stride_kernelIfLi4EZNS0_9templates4cuda20normal_and_transformIN3c108BFloat16EfPNS_17CUDAGeneratorImplEZZZNS4_17log_normal_kernelIS9_EEvRNS_18TensorIteratorBaseEddT_ENKUlvE_clEvENKUlvE2_clEvEUlfE_EEvSC_T1_T2_EUlP25hiprandStatePhilox4_32_10E_ZNS1_27distribution_nullary_kernelIS7_f15HIP_vector_typeIdLj2EES9_SL_SG_EEvSC_SI_RKT3_T4_EUlifE_EEvlNS_15PhiloxCudaStateESH_SI_
    .private_segment_fixed_size: 0
    .sgpr_count:     57
    .sgpr_spill_count: 0
    .symbol:         _ZN2at6native12_GLOBAL__N_143distribution_elementwise_grid_stride_kernelIfLi4EZNS0_9templates4cuda20normal_and_transformIN3c108BFloat16EfPNS_17CUDAGeneratorImplEZZZNS4_17log_normal_kernelIS9_EEvRNS_18TensorIteratorBaseEddT_ENKUlvE_clEvENKUlvE2_clEvEUlfE_EEvSC_T1_T2_EUlP25hiprandStatePhilox4_32_10E_ZNS1_27distribution_nullary_kernelIS7_f15HIP_vector_typeIdLj2EES9_SL_SG_EEvSC_SI_RKT3_T4_EUlifE_EEvlNS_15PhiloxCudaStateESH_SI_.kd
    .uniform_work_group_size: 1
    .uses_dynamic_stack: false
    .vgpr_count:     102
    .vgpr_spill_count: 0
    .wavefront_size: 64
  - .agpr_count:     0
    .args:
      - .offset:         0
        .size:           8
        .value_kind:     by_value
      - .offset:         8
        .size:           32
        .value_kind:     by_value
      - .offset:         40
        .size:           1
        .value_kind:     by_value
      - .offset:         48
        .size:           280
        .value_kind:     by_value
      - .offset:         328
        .size:           4
        .value_kind:     hidden_block_count_x
      - .offset:         332
        .size:           4
        .value_kind:     hidden_block_count_y
      - .offset:         336
        .size:           4
        .value_kind:     hidden_block_count_z
      - .offset:         340
        .size:           2
        .value_kind:     hidden_group_size_x
      - .offset:         342
        .size:           2
        .value_kind:     hidden_group_size_y
      - .offset:         344
        .size:           2
        .value_kind:     hidden_group_size_z
      - .offset:         346
        .size:           2
        .value_kind:     hidden_remainder_x
      - .offset:         348
        .size:           2
        .value_kind:     hidden_remainder_y
      - .offset:         350
        .size:           2
        .value_kind:     hidden_remainder_z
      - .offset:         368
        .size:           8
        .value_kind:     hidden_global_offset_x
      - .offset:         376
        .size:           8
        .value_kind:     hidden_global_offset_y
      - .offset:         384
        .size:           8
        .value_kind:     hidden_global_offset_z
      - .offset:         392
        .size:           2
        .value_kind:     hidden_grid_dims
    .group_segment_fixed_size: 0
    .kernarg_segment_align: 8
    .kernarg_segment_size: 584
    .language:       OpenCL C
    .language_version:
      - 2
      - 0
    .max_flat_workgroup_size: 256
    .name:           _ZN2at6native12_GLOBAL__N_143distribution_elementwise_grid_stride_kernelIfLi4EZNS0_9templates4cuda20normal_and_transformIN3c108BFloat16EfPNS_17CUDAGeneratorImplEZZZNS4_17log_normal_kernelIS9_EEvRNS_18TensorIteratorBaseEddT_ENKUlvE_clEvENKUlvE2_clEvEUlfE_EEvSC_T1_T2_EUlP25hiprandStatePhilox4_32_10E_ZNS1_27distribution_nullary_kernelIS7_f15HIP_vector_typeIdLj2EES9_SL_SG_EEvSC_SI_RKT3_T4_EUlifE0_EEvlNS_15PhiloxCudaStateESH_SI_
    .private_segment_fixed_size: 0
    .sgpr_count:     102
    .sgpr_spill_count: 0
    .symbol:         _ZN2at6native12_GLOBAL__N_143distribution_elementwise_grid_stride_kernelIfLi4EZNS0_9templates4cuda20normal_and_transformIN3c108BFloat16EfPNS_17CUDAGeneratorImplEZZZNS4_17log_normal_kernelIS9_EEvRNS_18TensorIteratorBaseEddT_ENKUlvE_clEvENKUlvE2_clEvEUlfE_EEvSC_T1_T2_EUlP25hiprandStatePhilox4_32_10E_ZNS1_27distribution_nullary_kernelIS7_f15HIP_vector_typeIdLj2EES9_SL_SG_EEvSC_SI_RKT3_T4_EUlifE0_EEvlNS_15PhiloxCudaStateESH_SI_.kd
    .uniform_work_group_size: 1
    .uses_dynamic_stack: false
    .vgpr_count:     102
    .vgpr_spill_count: 0
    .wavefront_size: 64
  - .agpr_count:     0
    .args:
      - .offset:         0
        .size:           8
        .value_kind:     by_value
      - .offset:         8
        .size:           32
        .value_kind:     by_value
      - .offset:         40
        .size:           1
        .value_kind:     by_value
      - .offset:         48
        .size:           24
        .value_kind:     by_value
      - .offset:         72
        .size:           4
        .value_kind:     hidden_block_count_x
      - .offset:         76
        .size:           4
        .value_kind:     hidden_block_count_y
      - .offset:         80
        .size:           4
        .value_kind:     hidden_block_count_z
      - .offset:         84
        .size:           2
        .value_kind:     hidden_group_size_x
      - .offset:         86
        .size:           2
        .value_kind:     hidden_group_size_y
      - .offset:         88
        .size:           2
        .value_kind:     hidden_group_size_z
      - .offset:         90
        .size:           2
        .value_kind:     hidden_remainder_x
      - .offset:         92
        .size:           2
        .value_kind:     hidden_remainder_y
      - .offset:         94
        .size:           2
        .value_kind:     hidden_remainder_z
      - .offset:         112
        .size:           8
        .value_kind:     hidden_global_offset_x
      - .offset:         120
        .size:           8
        .value_kind:     hidden_global_offset_y
      - .offset:         128
        .size:           8
        .value_kind:     hidden_global_offset_z
      - .offset:         136
        .size:           2
        .value_kind:     hidden_grid_dims
    .group_segment_fixed_size: 0
    .kernarg_segment_align: 8
    .kernarg_segment_size: 328
    .language:       OpenCL C
    .language_version:
      - 2
      - 0
    .max_flat_workgroup_size: 256
    .name:           _ZN2at6native12_GLOBAL__N_143distribution_elementwise_grid_stride_kernelIfLi4EZNS0_9templates4cuda20normal_and_transformIN3c108BFloat16EfPNS_17CUDAGeneratorImplEZZZNS4_17log_normal_kernelIS9_EEvRNS_18TensorIteratorBaseEddT_ENKUlvE_clEvENKUlvE2_clEvEUlfE_EEvSC_T1_T2_EUlP25hiprandStatePhilox4_32_10E0_ZNS1_27distribution_nullary_kernelIS7_f15HIP_vector_typeIfLj4EES9_SL_SG_EEvSC_SI_RKT3_T4_EUlifE_EEvlNS_15PhiloxCudaStateESH_SI_
    .private_segment_fixed_size: 0
    .sgpr_count:     41
    .sgpr_spill_count: 0
    .symbol:         _ZN2at6native12_GLOBAL__N_143distribution_elementwise_grid_stride_kernelIfLi4EZNS0_9templates4cuda20normal_and_transformIN3c108BFloat16EfPNS_17CUDAGeneratorImplEZZZNS4_17log_normal_kernelIS9_EEvRNS_18TensorIteratorBaseEddT_ENKUlvE_clEvENKUlvE2_clEvEUlfE_EEvSC_T1_T2_EUlP25hiprandStatePhilox4_32_10E0_ZNS1_27distribution_nullary_kernelIS7_f15HIP_vector_typeIfLj4EES9_SL_SG_EEvSC_SI_RKT3_T4_EUlifE_EEvlNS_15PhiloxCudaStateESH_SI_.kd
    .uniform_work_group_size: 1
    .uses_dynamic_stack: false
    .vgpr_count:     56
    .vgpr_spill_count: 0
    .wavefront_size: 64
  - .agpr_count:     0
    .args:
      - .offset:         0
        .size:           8
        .value_kind:     by_value
      - .offset:         8
        .size:           32
        .value_kind:     by_value
      - .offset:         40
        .size:           1
        .value_kind:     by_value
      - .offset:         48
        .size:           280
        .value_kind:     by_value
      - .offset:         328
        .size:           4
        .value_kind:     hidden_block_count_x
      - .offset:         332
        .size:           4
        .value_kind:     hidden_block_count_y
      - .offset:         336
        .size:           4
        .value_kind:     hidden_block_count_z
      - .offset:         340
        .size:           2
        .value_kind:     hidden_group_size_x
      - .offset:         342
        .size:           2
        .value_kind:     hidden_group_size_y
      - .offset:         344
        .size:           2
        .value_kind:     hidden_group_size_z
      - .offset:         346
        .size:           2
        .value_kind:     hidden_remainder_x
      - .offset:         348
        .size:           2
        .value_kind:     hidden_remainder_y
      - .offset:         350
        .size:           2
        .value_kind:     hidden_remainder_z
      - .offset:         368
        .size:           8
        .value_kind:     hidden_global_offset_x
      - .offset:         376
        .size:           8
        .value_kind:     hidden_global_offset_y
      - .offset:         384
        .size:           8
        .value_kind:     hidden_global_offset_z
      - .offset:         392
        .size:           2
        .value_kind:     hidden_grid_dims
    .group_segment_fixed_size: 0
    .kernarg_segment_align: 8
    .kernarg_segment_size: 584
    .language:       OpenCL C
    .language_version:
      - 2
      - 0
    .max_flat_workgroup_size: 256
    .name:           _ZN2at6native12_GLOBAL__N_143distribution_elementwise_grid_stride_kernelIfLi4EZNS0_9templates4cuda20normal_and_transformIN3c108BFloat16EfPNS_17CUDAGeneratorImplEZZZNS4_17log_normal_kernelIS9_EEvRNS_18TensorIteratorBaseEddT_ENKUlvE_clEvENKUlvE2_clEvEUlfE_EEvSC_T1_T2_EUlP25hiprandStatePhilox4_32_10E0_ZNS1_27distribution_nullary_kernelIS7_f15HIP_vector_typeIfLj4EES9_SL_SG_EEvSC_SI_RKT3_T4_EUlifE0_EEvlNS_15PhiloxCudaStateESH_SI_
    .private_segment_fixed_size: 0
    .sgpr_count:     84
    .sgpr_spill_count: 0
    .symbol:         _ZN2at6native12_GLOBAL__N_143distribution_elementwise_grid_stride_kernelIfLi4EZNS0_9templates4cuda20normal_and_transformIN3c108BFloat16EfPNS_17CUDAGeneratorImplEZZZNS4_17log_normal_kernelIS9_EEvRNS_18TensorIteratorBaseEddT_ENKUlvE_clEvENKUlvE2_clEvEUlfE_EEvSC_T1_T2_EUlP25hiprandStatePhilox4_32_10E0_ZNS1_27distribution_nullary_kernelIS7_f15HIP_vector_typeIfLj4EES9_SL_SG_EEvSC_SI_RKT3_T4_EUlifE0_EEvlNS_15PhiloxCudaStateESH_SI_.kd
    .uniform_work_group_size: 1
    .uses_dynamic_stack: false
    .vgpr_count:     54
    .vgpr_spill_count: 0
    .wavefront_size: 64
amdhsa.target:   amdgcn-amd-amdhsa--gfx942
amdhsa.version:
  - 1
  - 2
...

	.end_amdgpu_metadata
